;; amdgpu-corpus repo=ROCm/rocFFT kind=compiled arch=gfx1201 opt=O3
	.text
	.amdgcn_target "amdgcn-amd-amdhsa--gfx1201"
	.amdhsa_code_object_version 6
	.protected	bluestein_single_back_len51_dim1_dp_op_CI_CI ; -- Begin function bluestein_single_back_len51_dim1_dp_op_CI_CI
	.globl	bluestein_single_back_len51_dim1_dp_op_CI_CI
	.p2align	8
	.type	bluestein_single_back_len51_dim1_dp_op_CI_CI,@function
bluestein_single_back_len51_dim1_dp_op_CI_CI: ; @bluestein_single_back_len51_dim1_dp_op_CI_CI
; %bb.0:
	s_load_b128 s[4:7], s[0:1], 0x28
	v_mul_u32_u24_e32 v1, 0xf10, v0
	s_mov_b32 s2, exec_lo
	s_delay_alu instid0(VALU_DEP_1) | instskip(NEXT) | instid1(VALU_DEP_1)
	v_lshrrev_b32_e32 v1, 16, v1
	v_mad_co_u64_u32 v[124:125], null, ttmp9, 15, v[1:2]
	v_mov_b32_e32 v125, 0
	s_wait_kmcnt 0x0
	s_delay_alu instid0(VALU_DEP_1)
	v_cmpx_gt_u64_e64 s[4:5], v[124:125]
	s_cbranch_execz .LBB0_15
; %bb.1:
	v_mul_hi_u32 v2, 0x88888889, v124
	v_mul_lo_u16 v1, v1, 17
	s_clause 0x1
	s_load_b64 s[4:5], s[0:1], 0x0
	s_load_b64 s[12:13], s[0:1], 0x38
	s_delay_alu instid0(VALU_DEP_1) | instskip(NEXT) | instid1(VALU_DEP_3)
	v_sub_nc_u16 v0, v0, v1
	v_lshrrev_b32_e32 v2, 3, v2
	s_delay_alu instid0(VALU_DEP_2) | instskip(SKIP_1) | instid1(VALU_DEP_3)
	v_and_b32_e32 v255, 0xffff, v0
	v_cmp_gt_u16_e32 vcc_lo, 3, v0
	v_mul_lo_u32 v2, v2, 15
	s_delay_alu instid0(VALU_DEP_3)
	v_or_b32_e32 v0, 12, v255
	v_lshlrev_b32_e32 v246, 4, v255
	v_or_b32_e32 v245, 48, v255
	scratch_store_b32 off, v0, off offset:16 ; 4-byte Folded Spill
	v_sub_nc_u32_e32 v1, v124, v2
	v_or_b32_e32 v0, 24, v255
	s_delay_alu instid0(VALU_DEP_2)
	v_mul_u32_u24_e32 v1, 51, v1
	scratch_store_b32 off, v0, off offset:12 ; 4-byte Folded Spill
	v_or_b32_e32 v0, 36, v255
	s_clause 0x1
	scratch_store_b32 off, v0, off offset:8
	scratch_store_b32 off, v1, off
	v_lshlrev_b32_e32 v0, 4, v1
	scratch_store_b32 off, v0, off offset:4 ; 4-byte Folded Spill
	s_and_saveexec_b32 s3, vcc_lo
	s_cbranch_execz .LBB0_3
; %bb.2:
	s_load_b64 s[8:9], s[0:1], 0x18
	v_or_b32_e32 v63, 12, v255
	v_or_b32_e32 v64, 24, v255
	;; [unrolled: 1-line block ×3, first 2 shown]
	s_wait_kmcnt 0x0
	s_load_b128 s[8:11], s[8:9], 0x0
	s_clause 0xb
	global_load_b128 v[0:3], v246, s[4:5]
	global_load_b128 v[4:7], v246, s[4:5] offset:48
	global_load_b128 v[8:11], v246, s[4:5] offset:96
	;; [unrolled: 1-line block ×11, first 2 shown]
	s_wait_kmcnt 0x0
	v_mad_co_u64_u32 v[48:49], null, s10, v124, 0
	v_mad_co_u64_u32 v[50:51], null, s8, v255, 0
	;; [unrolled: 1-line block ×5, first 2 shown]
	s_delay_alu instid0(VALU_DEP_4) | instskip(SKIP_3) | instid1(VALU_DEP_4)
	v_mad_co_u64_u32 v[60:61], null, s11, v124, v[49:50]
	v_mad_co_u64_u32 v[58:59], null, s8, v245, 0
	;; [unrolled: 1-line block ×4, first 2 shown]
	v_mov_b32_e32 v49, v60
	v_mad_co_u64_u32 v[63:64], null, s9, v64, v[55:56]
	v_mad_co_u64_u32 v[64:65], null, s9, v65, v[57:58]
	;; [unrolled: 1-line block ×3, first 2 shown]
	v_mov_b32_e32 v51, v61
	v_lshlrev_b64_e32 v[48:49], 4, v[48:49]
	v_mov_b32_e32 v53, v62
	v_mov_b32_e32 v55, v63
	s_mul_u64 s[10:11], s[8:9], 48
	v_lshlrev_b64_e32 v[50:51], 4, v[50:51]
	v_mov_b32_e32 v59, v65
	v_add_co_u32 v96, s2, s6, v48
	v_lshlrev_b64_e32 v[52:53], 4, v[52:53]
	v_add_co_ci_u32_e64 v97, s2, s7, v49, s2
	s_delay_alu instid0(VALU_DEP_4) | instskip(NEXT) | instid1(VALU_DEP_4)
	v_lshlrev_b64_e32 v[92:93], 4, v[58:59]
	v_add_co_u32 v58, s2, v96, v50
	s_wait_alu 0xf1ff
	s_delay_alu instid0(VALU_DEP_3)
	v_add_co_ci_u32_e64 v59, s2, v97, v51, s2
	v_lshlrev_b64_e32 v[54:55], 4, v[54:55]
	v_add_co_u32 v72, s2, v96, v52
	v_mov_b32_e32 v57, v64
	s_wait_alu 0xf1ff
	v_add_co_ci_u32_e64 v73, s2, v97, v53, s2
	s_wait_alu 0xfffe
	v_add_co_u32 v60, s2, v58, s10
	s_wait_alu 0xf1ff
	v_add_co_ci_u32_e64 v61, s2, s11, v59, s2
	v_lshlrev_b64_e32 v[56:57], 4, v[56:57]
	v_add_co_u32 v48, s2, v96, v54
	s_wait_alu 0xf1ff
	v_add_co_ci_u32_e64 v49, s2, v97, v55, s2
	v_add_co_u32 v64, s2, v60, s10
	s_wait_alu 0xf1ff
	v_add_co_ci_u32_e64 v65, s2, s11, v61, s2
	;; [unrolled: 3-line block ×4, first 2 shown]
	s_mul_u64 s[8:9], s[8:9], 0x60
	s_clause 0x1
	global_load_b128 v[48:51], v[48:49], off
	global_load_b128 v[52:55], v[52:53], off
	s_wait_alu 0xfffe
	v_add_co_u32 v76, s2, v68, s8
	s_wait_alu 0xf1ff
	v_add_co_ci_u32_e64 v77, s2, s9, v69, s2
	s_clause 0x1
	global_load_b128 v[56:59], v[58:59], off
	global_load_b128 v[60:63], v[60:61], off
	v_add_co_u32 v80, s2, v76, s10
	s_wait_alu 0xf1ff
	v_add_co_ci_u32_e64 v81, s2, s11, v77, s2
	s_clause 0x1
	global_load_b128 v[64:67], v[64:65], off
	global_load_b128 v[68:71], v[68:69], off
	v_add_co_u32 v84, s2, v80, s10
	s_wait_alu 0xf1ff
	v_add_co_ci_u32_e64 v85, s2, s11, v81, s2
	s_delay_alu instid0(VALU_DEP_2) | instskip(SKIP_1) | instid1(VALU_DEP_2)
	v_add_co_u32 v94, s2, v84, s8
	s_wait_alu 0xf1ff
	v_add_co_ci_u32_e64 v95, s2, s9, v85, s2
	s_clause 0x1
	global_load_b128 v[72:75], v[72:73], off
	global_load_b128 v[76:79], v[76:77], off
	;; [unrolled: 1-line block ×5, first 2 shown]
	v_add_co_u32 v96, s2, v96, v92
	s_wait_alu 0xf1ff
	v_add_co_ci_u32_e64 v97, s2, v97, v93, s2
	v_add_co_u32 v100, s2, v94, s10
	s_wait_alu 0xf1ff
	v_add_co_ci_u32_e64 v101, s2, s11, v95, s2
	global_load_b128 v[92:95], v246, s[4:5] offset:768
	global_load_b128 v[96:99], v[96:97], off
	v_add_co_u32 v112, s2, v100, s10
	s_wait_alu 0xf1ff
	v_add_co_ci_u32_e64 v113, s2, s11, v101, s2
	global_load_b128 v[100:103], v[100:101], off
	v_add_co_u32 v116, s2, v112, s8
	s_wait_alu 0xf1ff
	v_add_co_ci_u32_e64 v117, s2, s9, v113, s2
	s_clause 0x1
	global_load_b128 v[104:107], v246, s[4:5] offset:480
	global_load_b128 v[108:111], v246, s[4:5] offset:528
	v_add_co_u32 v120, s2, v116, s10
	s_wait_alu 0xf1ff
	v_add_co_ci_u32_e64 v121, s2, s11, v117, s2
	global_load_b128 v[112:115], v[112:113], off
	v_add_co_u32 v133, s2, v120, s10
	s_wait_alu 0xf1ff
	v_add_co_ci_u32_e64 v134, s2, s11, v121, s2
	global_load_b128 v[116:119], v[116:117], off
	global_load_b128 v[120:123], v[120:121], off
	s_clause 0x1
	global_load_b128 v[125:128], v246, s[4:5] offset:672
	global_load_b128 v[129:132], v246, s[4:5] offset:720
	global_load_b128 v[133:136], v[133:134], off
	s_wait_loadcnt 0x15
	v_mul_f64_e32 v[141:142], v[50:51], v[26:27]
	v_mul_f64_e32 v[26:27], v[48:49], v[26:27]
	s_wait_loadcnt 0x14
	v_mul_f64_e32 v[143:144], v[54:55], v[34:35]
	v_mul_f64_e32 v[34:35], v[52:53], v[34:35]
	;; [unrolled: 3-line block ×4, first 2 shown]
	s_wait_loadcnt 0x11
	v_mul_f64_e32 v[151:152], v[66:67], v[10:11]
	s_wait_loadcnt 0x10
	v_mul_f64_e32 v[153:154], v[70:71], v[14:15]
	v_mul_f64_e32 v[155:156], v[68:69], v[14:15]
	;; [unrolled: 1-line block ×3, first 2 shown]
	s_wait_loadcnt 0xf
	v_mul_f64_e32 v[139:140], v[74:75], v[18:19]
	v_mul_f64_e32 v[18:19], v[72:73], v[18:19]
	s_wait_loadcnt 0xe
	v_mul_f64_e32 v[157:158], v[78:79], v[22:23]
	v_mul_f64_e32 v[159:160], v[76:77], v[22:23]
	;; [unrolled: 3-line block ×3, first 2 shown]
	v_mul_f64_e32 v[161:162], v[82:83], v[42:43]
	v_mul_f64_e32 v[42:43], v[80:81], v[42:43]
	;; [unrolled: 1-line block ×4, first 2 shown]
	s_wait_loadcnt 0x9
	v_mul_f64_e32 v[145:146], v[98:99], v[94:95]
	v_mul_f64_e32 v[94:95], v[96:97], v[94:95]
	v_fma_f64 v[14:15], v[48:49], v[24:25], v[141:142]
	s_wait_loadcnt 0x7
	v_mul_f64_e32 v[171:172], v[102:103], v[106:107]
	v_fma_f64 v[22:23], v[52:53], v[32:33], v[143:144]
	v_mul_f64_e32 v[106:107], v[100:101], v[106:107]
	v_fma_f64 v[56:57], v[56:57], v[0:1], v[137:138]
	v_fma_f64 v[58:59], v[58:59], v[0:1], -v[2:3]
	v_fma_f64 v[30:31], v[60:61], v[4:5], v[147:148]
	s_wait_loadcnt 0x5
	v_mul_f64_e32 v[173:174], v[114:115], v[110:111]
	v_mul_f64_e32 v[110:111], v[112:113], v[110:111]
	s_wait_loadcnt 0x4
	v_mul_f64_e32 v[175:176], v[118:119], v[38:39]
	v_mul_f64_e32 v[177:178], v[116:117], v[38:39]
	;; [unrolled: 3-line block ×4, first 2 shown]
	v_fma_f64 v[46:47], v[64:65], v[8:9], v[151:152]
	v_fma_f64 v[0:1], v[72:73], v[16:17], v[139:140]
	v_fma_f64 v[2:3], v[74:75], v[16:17], -v[18:19]
	v_fma_f64 v[16:17], v[50:51], v[24:25], -v[26:27]
	;; [unrolled: 1-line block ×4, first 2 shown]
	scratch_load_b32 v5, off, off offset:4  ; 4-byte Folded Reload
	v_fma_f64 v[48:49], v[66:67], v[8:9], -v[10:11]
	v_fma_f64 v[10:11], v[68:69], v[12:13], v[153:154]
	v_fma_f64 v[12:13], v[70:71], v[12:13], -v[155:156]
	v_fma_f64 v[18:19], v[76:77], v[20:21], v[157:158]
	;; [unrolled: 2-line block ×11, first 2 shown]
	v_fma_f64 v[70:71], v[135:136], v[129:130], -v[131:132]
	s_wait_loadcnt 0x0
	v_lshl_add_u32 v4, v255, 4, v5
	v_add_nc_u32_e32 v5, v5, v246
	ds_store_b128 v4, v[56:59]
	ds_store_b128 v5, v[30:33] offset:48
	ds_store_b128 v5, v[46:49] offset:96
	;; [unrolled: 1-line block ×16, first 2 shown]
.LBB0_3:
	s_or_b32 exec_lo, exec_lo, s3
	s_clause 0x1
	s_load_b64 s[2:3], s[0:1], 0x20
	s_load_b64 s[6:7], s[0:1], 0x8
	global_wb scope:SCOPE_SE
	s_wait_storecnt_dscnt 0x0
	s_wait_kmcnt 0x0
	s_barrier_signal -1
	s_barrier_wait -1
	global_inv scope:SCOPE_SE
                                        ; implicit-def: $vgpr74_vgpr75
                                        ; implicit-def: $vgpr82_vgpr83
                                        ; implicit-def: $vgpr90_vgpr91
                                        ; implicit-def: $vgpr94_vgpr95
                                        ; implicit-def: $vgpr102_vgpr103
                                        ; implicit-def: $vgpr106_vgpr107
                                        ; implicit-def: $vgpr98_vgpr99
                                        ; implicit-def: $vgpr86_vgpr87
                                        ; implicit-def: $vgpr78_vgpr79
                                        ; implicit-def: $vgpr70_vgpr71
                                        ; implicit-def: $vgpr66_vgpr67
                                        ; implicit-def: $vgpr10_vgpr11
                                        ; implicit-def: $vgpr6_vgpr7
                                        ; implicit-def: $vgpr112_vgpr113
                                        ; implicit-def: $vgpr108_vgpr109
                                        ; implicit-def: $vgpr116_vgpr117
                                        ; implicit-def: $vgpr120_vgpr121
	s_and_saveexec_b32 s0, vcc_lo
	s_cbranch_execz .LBB0_5
; %bb.4:
	scratch_load_b32 v0, off, off           ; 4-byte Folded Reload
	s_wait_loadcnt 0x0
	v_lshl_add_u32 v0, v0, 4, v246
	ds_load_b128 v[4:7], v0
	ds_load_b128 v[8:11], v0 offset:48
	ds_load_b128 v[64:67], v0 offset:96
	;; [unrolled: 1-line block ×16, first 2 shown]
.LBB0_5:
	s_wait_alu 0xfffe
	s_or_b32 exec_lo, exec_lo, s0
	s_wait_dscnt 0x0
	v_add_f64_e64 v[56:57], v[10:11], -v[122:123]
	s_mov_b32 s14, 0x5d8e7cdc
	s_mov_b32 s15, 0xbfd71e95
	v_add_f64_e32 v[129:130], v[8:9], v[120:121]
	v_add_f64_e64 v[58:59], v[66:67], -v[118:119]
	s_mov_b32 s0, 0x370991
	s_mov_b32 s28, 0x2a9d6da3
	s_mov_b32 s1, 0x3fedd6d0
	s_mov_b32 s29, 0xbfe58eea
	v_add_f64_e32 v[133:134], v[64:65], v[116:117]
	v_add_f64_e64 v[62:63], v[64:65], -v[116:117]
	s_mov_b32 s10, 0x75d4884
	s_mov_b32 s11, 0x3fe7a5f6
	v_add_f64_e64 v[60:61], v[8:9], -v[120:121]
	v_add_f64_e32 v[139:140], v[10:11], v[122:123]
	v_add_f64_e32 v[137:138], v[66:67], v[118:119]
	v_add_f64_e64 v[173:174], v[70:71], -v[110:111]
	s_mov_b32 s22, 0x7c9e640b
	s_mov_b32 s23, 0xbfeca52d
	v_add_f64_e32 v[145:146], v[68:69], v[108:109]
	s_mov_b32 s8, 0x2b2883cd
	s_mov_b32 s9, 0x3fdc86fa
	v_add_f64_e64 v[175:176], v[68:69], -v[108:109]
	v_add_f64_e32 v[147:148], v[70:71], v[110:111]
	v_add_f64_e64 v[185:186], v[78:79], -v[114:115]
	s_mov_b32 s30, 0xeb564b22
	s_mov_b32 s31, 0xbfefdd0d
	v_add_f64_e32 v[153:154], v[76:77], v[112:113]
	s_mov_b32 s16, 0x3259b75e
	s_mov_b32 s17, 0x3fb79ee6
	v_add_f64_e64 v[187:188], v[76:77], -v[112:113]
	v_add_f64_e32 v[155:156], v[78:79], v[114:115]
	v_add_f64_e32 v[197:198], v[72:73], v[84:85]
	s_mov_b32 s18, 0xc61f0d01
	s_mov_b32 s19, 0xbfd183b1
	v_add_f64_e64 v[161:162], v[86:87], -v[74:75]
	s_mov_b32 s20, 0x923c349f
	s_mov_b32 s21, 0xbfeec746
	v_mul_f64_e32 v[0:1], s[14:15], v[56:57]
	v_add_f64_e64 v[201:202], v[84:85], -v[72:73]
	v_add_f64_e32 v[163:164], v[74:75], v[86:87]
	v_add_f64_e32 v[233:234], v[80:81], v[96:97]
	v_mul_f64_e32 v[2:3], s[28:29], v[58:59]
	s_mov_b32 s26, 0x6ed5f1bb
	s_mov_b32 s27, 0xbfe348c8
	v_add_f64_e64 v[169:170], v[98:99], -v[82:83]
	v_add_f64_e64 v[235:236], v[96:97], -v[80:81]
	s_mov_b32 s24, 0x6c9a05f6
	v_mul_f64_e32 v[12:13], s[28:29], v[62:63]
	s_mov_b32 s25, 0xbfe9895b
	v_add_f64_e32 v[171:172], v[82:83], v[98:99]
	v_add_f64_e32 v[237:238], v[88:89], v[104:105]
	s_mov_b32 s36, 0x910ea3b9
	s_mov_b32 s37, 0xbfeb34fa
	v_add_f64_e64 v[181:182], v[106:107], -v[90:91]
	v_add_f64_e64 v[239:240], v[104:105], -v[88:89]
	s_mov_b32 s34, 0x4363dd80
	s_mov_b32 s35, 0xbfe0d888
	v_add_f64_e32 v[183:184], v[90:91], v[106:107]
	v_add_f64_e32 v[241:242], v[92:93], v[100:101]
	s_mov_b32 s40, 0x7faef3
	s_mov_b32 s41, 0xbfef7484
	v_add_f64_e64 v[193:194], v[102:103], -v[94:95]
	v_add_f64_e64 v[243:244], v[100:101], -v[92:93]
	s_mov_b32 s38, 0xacd6c6b4
	s_mov_b32 s39, 0xbfc7851a
	v_add_f64_e32 v[195:196], v[94:95], v[102:103]
	v_mul_f64_e32 v[227:228], s[28:29], v[56:57]
	v_mul_f64_e32 v[225:226], s[30:31], v[58:59]
	;; [unrolled: 1-line block ×9, first 2 shown]
	scratch_store_b64 off, v[0:1], off offset:20 ; 8-byte Folded Spill
	s_wait_alu 0xfffe
	v_fma_f64 v[0:1], v[129:130], s[0:1], v[0:1]
	s_mov_b32 s49, 0x3fe0d888
	s_mov_b32 s48, s34
	scratch_store_b64 off, v[2:3], off offset:36 ; 8-byte Folded Spill
	v_fma_f64 v[2:3], v[133:134], s[10:11], v[2:3]
	v_mul_f64_e32 v[215:216], s[48:49], v[201:202]
	v_mul_f64_e32 v[209:210], s[18:19], v[233:234]
	;; [unrolled: 1-line block ×3, first 2 shown]
	s_mov_b32 s47, 0x3feec746
	scratch_store_b64 off, v[12:13], off offset:44 ; 8-byte Folded Spill
	v_fma_f64 v[12:13], v[137:138], s[10:11], -v[12:13]
	s_mov_b32 s46, s20
	v_mul_f64_e32 v[177:178], s[36:37], v[237:238]
	v_mul_f64_e32 v[211:212], s[46:47], v[235:236]
	;; [unrolled: 1-line block ×3, first 2 shown]
	s_mov_b32 s45, 0x3feca52d
	v_mul_f64_e32 v[179:180], s[34:35], v[239:240]
	s_mov_b32 s44, s22
	s_mov_b32 s43, 0x3fd71e95
	v_mul_f64_e32 v[207:208], s[44:45], v[239:240]
	v_mul_f64_e32 v[189:190], s[40:41], v[241:242]
	v_mul_f64_e32 v[199:200], s[0:1], v[241:242]
	s_mov_b32 s42, s14
	v_mul_f64_e32 v[20:21], s[22:23], v[56:57]
	v_mul_f64_e32 v[191:192], s[38:39], v[243:244]
	;; [unrolled: 1-line block ×6, first 2 shown]
	v_fma_f64 v[14:15], v[133:134], s[16:17], v[225:226]
	s_mov_b32 s55, 0x3fc7851a
	v_fma_f64 v[16:17], v[137:138], s[16:17], -v[229:230]
	s_mov_b32 s54, s38
	s_mov_b32 s53, 0x3fe58eea
	;; [unrolled: 1-line block ×6, first 2 shown]
	v_add_f64_e32 v[0:1], v[4:5], v[0:1]
	s_mov_b32 s56, s24
	v_fma_f64 v[18:19], v[133:134], s[26:27], -v[22:23]
	v_fma_f64 v[22:23], v[133:134], s[26:27], v[22:23]
	v_fma_f64 v[28:29], v[137:138], s[26:27], v[26:27]
	s_delay_alu instid0(VALU_DEP_4) | instskip(SKIP_3) | instid1(VALU_DEP_1)
	v_add_f64_e32 v[0:1], v[2:3], v[0:1]
	v_mul_f64_e32 v[2:3], s[14:15], v[60:61]
	scratch_store_b64 off, v[2:3], off offset:52 ; 8-byte Folded Spill
	v_fma_f64 v[2:3], v[139:140], s[0:1], -v[2:3]
	v_add_f64_e32 v[2:3], v[6:7], v[2:3]
	s_delay_alu instid0(VALU_DEP_1) | instskip(SKIP_3) | instid1(VALU_DEP_1)
	v_add_f64_e32 v[2:3], v[12:13], v[2:3]
	v_mul_f64_e32 v[12:13], s[22:23], v[173:174]
	scratch_store_b64 off, v[12:13], off offset:60 ; 8-byte Folded Spill
	v_fma_f64 v[12:13], v[145:146], s[8:9], v[12:13]
	v_add_f64_e32 v[0:1], v[12:13], v[0:1]
	v_mul_f64_e32 v[12:13], s[22:23], v[175:176]
	scratch_store_b64 off, v[12:13], off offset:68 ; 8-byte Folded Spill
	v_fma_f64 v[12:13], v[147:148], s[8:9], -v[12:13]
	s_delay_alu instid0(VALU_DEP_1) | instskip(SKIP_3) | instid1(VALU_DEP_1)
	v_add_f64_e32 v[2:3], v[12:13], v[2:3]
	v_mul_f64_e32 v[12:13], s[30:31], v[185:186]
	scratch_store_b64 off, v[12:13], off offset:76 ; 8-byte Folded Spill
	v_fma_f64 v[12:13], v[153:154], s[16:17], v[12:13]
	v_add_f64_e32 v[0:1], v[12:13], v[0:1]
	v_mul_f64_e32 v[12:13], s[30:31], v[187:188]
	scratch_store_b64 off, v[12:13], off offset:84 ; 8-byte Folded Spill
	v_fma_f64 v[12:13], v[155:156], s[16:17], -v[12:13]
	;; [unrolled: 9-line block ×3, first 2 shown]
	s_delay_alu instid0(VALU_DEP_1)
	v_add_f64_e32 v[2:3], v[12:13], v[2:3]
	v_mul_f64_e32 v[12:13], s[26:27], v[233:234]
	scratch_store_b64 off, v[12:13], off offset:108 ; 8-byte Folded Spill
	v_fma_f64 v[12:13], v[169:170], s[24:25], v[12:13]
	global_wb scope:SCOPE_SE
	s_wait_storecnt 0x0
	s_barrier_signal -1
	s_barrier_wait -1
	global_inv scope:SCOPE_SE
	v_add_f64_e32 v[0:1], v[12:13], v[0:1]
	v_fma_f64 v[12:13], v[171:172], s[26:27], -v[167:168]
	s_delay_alu instid0(VALU_DEP_1) | instskip(SKIP_1) | instid1(VALU_DEP_1)
	v_add_f64_e32 v[2:3], v[12:13], v[2:3]
	v_fma_f64 v[12:13], v[181:182], s[34:35], v[177:178]
	v_add_f64_e32 v[0:1], v[12:13], v[0:1]
	v_fma_f64 v[12:13], v[183:184], s[36:37], -v[179:180]
	s_delay_alu instid0(VALU_DEP_1) | instskip(SKIP_1) | instid1(VALU_DEP_1)
	v_add_f64_e32 v[2:3], v[12:13], v[2:3]
	v_fma_f64 v[12:13], v[193:194], s[38:39], v[189:190]
	;; [unrolled: 5-line block ×3, first 2 shown]
	v_add_f64_e32 v[12:13], v[4:5], v[12:13]
	s_delay_alu instid0(VALU_DEP_1) | instskip(SKIP_1) | instid1(VALU_DEP_1)
	v_add_f64_e32 v[12:13], v[14:15], v[12:13]
	v_fma_f64 v[14:15], v[139:140], s[10:11], -v[231:232]
	v_add_f64_e32 v[14:15], v[6:7], v[14:15]
	s_delay_alu instid0(VALU_DEP_1) | instskip(SKIP_1) | instid1(VALU_DEP_1)
	v_add_f64_e32 v[14:15], v[16:17], v[14:15]
	v_fma_f64 v[16:17], v[145:146], s[26:27], v[221:222]
	v_add_f64_e32 v[12:13], v[16:17], v[12:13]
	v_fma_f64 v[16:17], v[147:148], s[26:27], -v[223:224]
	s_delay_alu instid0(VALU_DEP_1) | instskip(SKIP_1) | instid1(VALU_DEP_1)
	v_add_f64_e32 v[14:15], v[16:17], v[14:15]
	v_fma_f64 v[16:17], v[153:154], s[40:41], v[217:218]
	v_add_f64_e32 v[12:13], v[16:17], v[12:13]
	v_fma_f64 v[16:17], v[155:156], s[40:41], -v[219:220]
	;; [unrolled: 5-line block ×6, first 2 shown]
	s_delay_alu instid0(VALU_DEP_1) | instskip(SKIP_2) | instid1(VALU_DEP_2)
	v_add_f64_e32 v[14:15], v[16:17], v[14:15]
	v_fma_f64 v[16:17], v[129:130], s[8:9], -v[20:21]
	v_fma_f64 v[20:21], v[129:130], s[8:9], v[20:21]
	v_add_f64_e32 v[16:17], v[4:5], v[16:17]
	s_delay_alu instid0(VALU_DEP_2) | instskip(NEXT) | instid1(VALU_DEP_2)
	v_add_f64_e32 v[20:21], v[4:5], v[20:21]
	v_add_f64_e32 v[16:17], v[18:19], v[16:17]
	v_fma_f64 v[18:19], v[139:140], s[8:9], v[24:25]
	s_delay_alu instid0(VALU_DEP_3) | instskip(SKIP_2) | instid1(VALU_DEP_4)
	v_add_f64_e32 v[20:21], v[22:23], v[20:21]
	v_fma_f64 v[22:23], v[139:140], s[8:9], -v[24:25]
	v_fma_f64 v[24:25], v[137:138], s[26:27], -v[26:27]
	v_add_f64_e32 v[18:19], v[6:7], v[18:19]
	s_delay_alu instid0(VALU_DEP_3) | instskip(NEXT) | instid1(VALU_DEP_2)
	v_add_f64_e32 v[22:23], v[6:7], v[22:23]
	v_add_f64_e32 v[18:19], v[28:29], v[18:19]
	v_mul_f64_e32 v[28:29], s[54:55], v[173:174]
	s_delay_alu instid0(VALU_DEP_3) | instskip(NEXT) | instid1(VALU_DEP_2)
	v_add_f64_e32 v[22:23], v[24:25], v[22:23]
	v_fma_f64 v[30:31], v[145:146], s[40:41], -v[28:29]
	v_fma_f64 v[24:25], v[145:146], s[40:41], v[28:29]
	v_mul_f64_e32 v[28:29], s[30:31], v[56:57]
	s_delay_alu instid0(VALU_DEP_3) | instskip(SKIP_1) | instid1(VALU_DEP_4)
	v_add_f64_e32 v[16:17], v[30:31], v[16:17]
	v_mul_f64_e32 v[30:31], s[54:55], v[175:176]
	v_add_f64_e32 v[20:21], v[24:25], v[20:21]
	s_delay_alu instid0(VALU_DEP_2) | instskip(SKIP_2) | instid1(VALU_DEP_3)
	v_fma_f64 v[32:33], v[147:148], s[40:41], v[30:31]
	v_fma_f64 v[24:25], v[147:148], s[40:41], -v[30:31]
	v_mul_f64_e32 v[30:31], s[38:39], v[58:59]
	v_add_f64_e32 v[18:19], v[32:33], v[18:19]
	v_mul_f64_e32 v[32:33], s[46:47], v[185:186]
	s_delay_alu instid0(VALU_DEP_4) | instskip(NEXT) | instid1(VALU_DEP_2)
	v_add_f64_e32 v[22:23], v[24:25], v[22:23]
	v_fma_f64 v[34:35], v[153:154], s[18:19], -v[32:33]
	v_fma_f64 v[24:25], v[153:154], s[18:19], v[32:33]
	v_mul_f64_e32 v[32:33], s[30:31], v[60:61]
	s_delay_alu instid0(VALU_DEP_3) | instskip(SKIP_1) | instid1(VALU_DEP_4)
	v_add_f64_e32 v[16:17], v[34:35], v[16:17]
	v_mul_f64_e32 v[34:35], s[46:47], v[187:188]
	v_add_f64_e32 v[20:21], v[24:25], v[20:21]
	s_delay_alu instid0(VALU_DEP_2) | instskip(SKIP_2) | instid1(VALU_DEP_3)
	v_fma_f64 v[36:37], v[155:156], s[18:19], v[34:35]
	v_fma_f64 v[24:25], v[155:156], s[18:19], -v[34:35]
	v_mul_f64_e32 v[34:35], s[38:39], v[62:63]
	v_add_f64_e32 v[18:19], v[36:37], v[18:19]
	v_mul_f64_e32 v[36:37], s[10:11], v[197:198]
	s_delay_alu instid0(VALU_DEP_4) | instskip(NEXT) | instid1(VALU_DEP_2)
	v_add_f64_e32 v[22:23], v[24:25], v[22:23]
	v_fma_f64 v[38:39], v[161:162], s[28:29], v[36:37]
	v_fma_f64 v[24:25], v[161:162], s[52:53], v[36:37]
	;; [unrolled: 1-line block ×3, first 2 shown]
	s_delay_alu instid0(VALU_DEP_3) | instskip(SKIP_1) | instid1(VALU_DEP_4)
	v_add_f64_e32 v[16:17], v[38:39], v[16:17]
	v_mul_f64_e32 v[38:39], s[52:53], v[201:202]
	v_add_f64_e32 v[20:21], v[24:25], v[20:21]
	s_delay_alu instid0(VALU_DEP_2) | instskip(SKIP_1) | instid1(VALU_DEP_2)
	v_fma_f64 v[40:41], v[163:164], s[10:11], v[38:39]
	v_fma_f64 v[24:25], v[163:164], s[10:11], -v[38:39]
	v_add_f64_e32 v[18:19], v[40:41], v[18:19]
	v_mul_f64_e32 v[40:41], s[0:1], v[233:234]
	s_delay_alu instid0(VALU_DEP_3) | instskip(NEXT) | instid1(VALU_DEP_2)
	v_add_f64_e32 v[22:23], v[24:25], v[22:23]
	v_fma_f64 v[42:43], v[169:170], s[42:43], v[40:41]
	v_fma_f64 v[24:25], v[169:170], s[14:15], v[40:41]
	s_delay_alu instid0(VALU_DEP_2) | instskip(SKIP_1) | instid1(VALU_DEP_3)
	v_add_f64_e32 v[16:17], v[42:43], v[16:17]
	v_mul_f64_e32 v[42:43], s[14:15], v[235:236]
	v_add_f64_e32 v[20:21], v[24:25], v[20:21]
	s_delay_alu instid0(VALU_DEP_2) | instskip(SKIP_1) | instid1(VALU_DEP_2)
	v_fma_f64 v[44:45], v[171:172], s[0:1], v[42:43]
	v_fma_f64 v[24:25], v[171:172], s[0:1], -v[42:43]
	v_add_f64_e32 v[18:19], v[44:45], v[18:19]
	v_mul_f64_e32 v[44:45], s[16:17], v[237:238]
	s_delay_alu instid0(VALU_DEP_3) | instskip(NEXT) | instid1(VALU_DEP_2)
	v_add_f64_e32 v[22:23], v[24:25], v[22:23]
	v_fma_f64 v[46:47], v[181:182], s[50:51], v[44:45]
	v_fma_f64 v[24:25], v[181:182], s[30:31], v[44:45]
	s_delay_alu instid0(VALU_DEP_2) | instskip(SKIP_1) | instid1(VALU_DEP_3)
	;; [unrolled: 13-line block ×3, first 2 shown]
	v_add_f64_e32 v[16:17], v[50:51], v[16:17]
	v_mul_f64_e32 v[50:51], s[34:35], v[243:244]
	v_add_f64_e32 v[20:21], v[24:25], v[20:21]
	v_fma_f64 v[24:25], v[129:130], s[16:17], -v[28:29]
	v_fma_f64 v[28:29], v[129:130], s[16:17], v[28:29]
	s_delay_alu instid0(VALU_DEP_4) | instskip(SKIP_1) | instid1(VALU_DEP_4)
	v_fma_f64 v[26:27], v[195:196], s[36:37], -v[50:51]
	v_fma_f64 v[52:53], v[195:196], s[36:37], v[50:51]
	v_add_f64_e32 v[24:25], v[4:5], v[24:25]
	s_delay_alu instid0(VALU_DEP_4) | instskip(NEXT) | instid1(VALU_DEP_4)
	v_add_f64_e32 v[28:29], v[4:5], v[28:29]
	v_add_f64_e32 v[22:23], v[26:27], v[22:23]
	v_fma_f64 v[26:27], v[133:134], s[40:41], -v[30:31]
	v_fma_f64 v[30:31], v[133:134], s[40:41], v[30:31]
	v_add_f64_e32 v[18:19], v[52:53], v[18:19]
	s_delay_alu instid0(VALU_DEP_3) | instskip(SKIP_1) | instid1(VALU_DEP_4)
	v_add_f64_e32 v[24:25], v[26:27], v[24:25]
	v_fma_f64 v[26:27], v[139:140], s[16:17], v[32:33]
	v_add_f64_e32 v[28:29], v[30:31], v[28:29]
	v_fma_f64 v[30:31], v[139:140], s[16:17], -v[32:33]
	v_fma_f64 v[32:33], v[137:138], s[40:41], -v[34:35]
	s_delay_alu instid0(VALU_DEP_4) | instskip(NEXT) | instid1(VALU_DEP_3)
	v_add_f64_e32 v[26:27], v[6:7], v[26:27]
	v_add_f64_e32 v[30:31], v[6:7], v[30:31]
	s_delay_alu instid0(VALU_DEP_2) | instskip(SKIP_1) | instid1(VALU_DEP_3)
	v_add_f64_e32 v[26:27], v[36:37], v[26:27]
	v_mul_f64_e32 v[36:37], s[46:47], v[173:174]
	v_add_f64_e32 v[30:31], v[32:33], v[30:31]
	s_delay_alu instid0(VALU_DEP_2) | instskip(SKIP_2) | instid1(VALU_DEP_3)
	v_fma_f64 v[38:39], v[145:146], s[18:19], -v[36:37]
	v_fma_f64 v[32:33], v[145:146], s[18:19], v[36:37]
	v_mul_f64_e32 v[36:37], s[20:21], v[56:57]
	v_add_f64_e32 v[24:25], v[38:39], v[24:25]
	v_mul_f64_e32 v[38:39], s[46:47], v[175:176]
	s_delay_alu instid0(VALU_DEP_4) | instskip(NEXT) | instid1(VALU_DEP_2)
	v_add_f64_e32 v[28:29], v[32:33], v[28:29]
	v_fma_f64 v[40:41], v[147:148], s[18:19], v[38:39]
	v_fma_f64 v[32:33], v[147:148], s[18:19], -v[38:39]
	v_mul_f64_e32 v[38:39], s[48:49], v[58:59]
	s_delay_alu instid0(VALU_DEP_3) | instskip(SKIP_1) | instid1(VALU_DEP_4)
	v_add_f64_e32 v[26:27], v[40:41], v[26:27]
	v_mul_f64_e32 v[40:41], s[42:43], v[185:186]
	v_add_f64_e32 v[30:31], v[32:33], v[30:31]
	s_delay_alu instid0(VALU_DEP_2) | instskip(SKIP_2) | instid1(VALU_DEP_3)
	v_fma_f64 v[42:43], v[153:154], s[0:1], -v[40:41]
	v_fma_f64 v[32:33], v[153:154], s[0:1], v[40:41]
	v_mul_f64_e32 v[40:41], s[20:21], v[60:61]
	v_add_f64_e32 v[24:25], v[42:43], v[24:25]
	v_mul_f64_e32 v[42:43], s[42:43], v[187:188]
	s_delay_alu instid0(VALU_DEP_4) | instskip(NEXT) | instid1(VALU_DEP_2)
	v_add_f64_e32 v[28:29], v[32:33], v[28:29]
	v_fma_f64 v[44:45], v[155:156], s[0:1], v[42:43]
	v_fma_f64 v[32:33], v[155:156], s[0:1], -v[42:43]
	v_mul_f64_e32 v[42:43], s[48:49], v[62:63]
	s_delay_alu instid0(VALU_DEP_3) | instskip(SKIP_1) | instid1(VALU_DEP_4)
	v_add_f64_e32 v[26:27], v[44:45], v[26:27]
	v_mul_f64_e32 v[44:45], s[8:9], v[197:198]
	v_add_f64_e32 v[30:31], v[32:33], v[30:31]
	s_delay_alu instid0(VALU_DEP_2) | instskip(SKIP_2) | instid1(VALU_DEP_3)
	v_fma_f64 v[46:47], v[161:162], s[44:45], v[44:45]
	v_fma_f64 v[32:33], v[161:162], s[22:23], v[44:45]
	;; [unrolled: 1-line block ×3, first 2 shown]
	v_add_f64_e32 v[24:25], v[46:47], v[24:25]
	v_mul_f64_e32 v[46:47], s[22:23], v[201:202]
	s_delay_alu instid0(VALU_DEP_4) | instskip(NEXT) | instid1(VALU_DEP_2)
	v_add_f64_e32 v[28:29], v[32:33], v[28:29]
	v_fma_f64 v[48:49], v[163:164], s[8:9], v[46:47]
	v_fma_f64 v[32:33], v[163:164], s[8:9], -v[46:47]
	s_delay_alu instid0(VALU_DEP_2) | instskip(SKIP_1) | instid1(VALU_DEP_3)
	v_add_f64_e32 v[26:27], v[48:49], v[26:27]
	v_mul_f64_e32 v[48:49], s[36:37], v[233:234]
	v_add_f64_e32 v[30:31], v[32:33], v[30:31]
	s_delay_alu instid0(VALU_DEP_2) | instskip(SKIP_1) | instid1(VALU_DEP_2)
	v_fma_f64 v[50:51], v[169:170], s[48:49], v[48:49]
	v_fma_f64 v[32:33], v[169:170], s[34:35], v[48:49]
	v_add_f64_e32 v[24:25], v[50:51], v[24:25]
	v_mul_f64_e32 v[50:51], s[34:35], v[235:236]
	s_delay_alu instid0(VALU_DEP_3) | instskip(NEXT) | instid1(VALU_DEP_2)
	v_add_f64_e32 v[28:29], v[32:33], v[28:29]
	v_fma_f64 v[52:53], v[171:172], s[36:37], v[50:51]
	v_fma_f64 v[32:33], v[171:172], s[36:37], -v[50:51]
	s_delay_alu instid0(VALU_DEP_2) | instskip(SKIP_1) | instid1(VALU_DEP_3)
	v_add_f64_e32 v[26:27], v[52:53], v[26:27]
	v_mul_f64_e32 v[52:53], s[26:27], v[237:238]
	v_add_f64_e32 v[30:31], v[32:33], v[30:31]
	s_delay_alu instid0(VALU_DEP_2) | instskip(SKIP_1) | instid1(VALU_DEP_2)
	v_fma_f64 v[54:55], v[181:182], s[24:25], v[52:53]
	v_fma_f64 v[32:33], v[181:182], s[56:57], v[52:53]
	v_add_f64_e32 v[24:25], v[54:55], v[24:25]
	v_mul_f64_e32 v[54:55], s[56:57], v[239:240]
	s_delay_alu instid0(VALU_DEP_3) | instskip(NEXT) | instid1(VALU_DEP_2)
	v_add_f64_e32 v[28:29], v[32:33], v[28:29]
	v_fma_f64 v[253:254], v[183:184], s[26:27], v[54:55]
	v_fma_f64 v[32:33], v[183:184], s[26:27], -v[54:55]
	s_delay_alu instid0(VALU_DEP_2) | instskip(SKIP_1) | instid1(VALU_DEP_3)
	v_add_f64_e32 v[26:27], v[253:254], v[26:27]
	v_mul_f64_e32 v[253:254], s[10:11], v[241:242]
	v_add_f64_e32 v[30:31], v[32:33], v[30:31]
	s_delay_alu instid0(VALU_DEP_2) | instskip(SKIP_1) | instid1(VALU_DEP_2)
	v_fma_f64 v[247:248], v[193:194], s[28:29], v[253:254]
	v_fma_f64 v[32:33], v[193:194], s[52:53], v[253:254]
	v_add_f64_e32 v[24:25], v[247:248], v[24:25]
	v_mul_f64_e32 v[247:248], s[52:53], v[243:244]
	s_delay_alu instid0(VALU_DEP_3) | instskip(SKIP_2) | instid1(VALU_DEP_4)
	v_add_f64_e32 v[28:29], v[32:33], v[28:29]
	v_fma_f64 v[32:33], v[129:130], s[18:19], -v[36:37]
	v_fma_f64 v[36:37], v[129:130], s[18:19], v[36:37]
	v_fma_f64 v[34:35], v[195:196], s[10:11], -v[247:248]
	v_fma_f64 v[251:252], v[195:196], s[10:11], v[247:248]
	s_delay_alu instid0(VALU_DEP_4) | instskip(NEXT) | instid1(VALU_DEP_4)
	v_add_f64_e32 v[32:33], v[4:5], v[32:33]
	v_add_f64_e32 v[36:37], v[4:5], v[36:37]
	s_delay_alu instid0(VALU_DEP_4) | instskip(SKIP_3) | instid1(VALU_DEP_3)
	v_add_f64_e32 v[30:31], v[34:35], v[30:31]
	v_fma_f64 v[34:35], v[133:134], s[36:37], -v[38:39]
	v_fma_f64 v[38:39], v[133:134], s[36:37], v[38:39]
	v_add_f64_e32 v[26:27], v[251:252], v[26:27]
	v_add_f64_e32 v[32:33], v[34:35], v[32:33]
	v_fma_f64 v[34:35], v[139:140], s[18:19], v[40:41]
	s_delay_alu instid0(VALU_DEP_4) | instskip(SKIP_2) | instid1(VALU_DEP_4)
	v_add_f64_e32 v[36:37], v[38:39], v[36:37]
	v_fma_f64 v[38:39], v[139:140], s[18:19], -v[40:41]
	v_fma_f64 v[40:41], v[137:138], s[36:37], -v[42:43]
	v_add_f64_e32 v[34:35], v[6:7], v[34:35]
	s_delay_alu instid0(VALU_DEP_3) | instskip(NEXT) | instid1(VALU_DEP_2)
	v_add_f64_e32 v[38:39], v[6:7], v[38:39]
	v_add_f64_e32 v[34:35], v[44:45], v[34:35]
	v_mul_f64_e32 v[44:45], s[52:53], v[173:174]
	s_delay_alu instid0(VALU_DEP_3) | instskip(NEXT) | instid1(VALU_DEP_2)
	v_add_f64_e32 v[38:39], v[40:41], v[38:39]
	v_fma_f64 v[46:47], v[145:146], s[10:11], -v[44:45]
	v_fma_f64 v[40:41], v[145:146], s[10:11], v[44:45]
	v_mul_f64_e32 v[44:45], s[24:25], v[56:57]
	s_delay_alu instid0(VALU_DEP_3) | instskip(SKIP_1) | instid1(VALU_DEP_4)
	v_add_f64_e32 v[32:33], v[46:47], v[32:33]
	v_mul_f64_e32 v[46:47], s[52:53], v[175:176]
	v_add_f64_e32 v[36:37], v[40:41], v[36:37]
	s_delay_alu instid0(VALU_DEP_2) | instskip(SKIP_2) | instid1(VALU_DEP_3)
	v_fma_f64 v[48:49], v[147:148], s[10:11], v[46:47]
	v_fma_f64 v[40:41], v[147:148], s[10:11], -v[46:47]
	v_mul_f64_e32 v[46:47], s[46:47], v[58:59]
	v_add_f64_e32 v[34:35], v[48:49], v[34:35]
	v_mul_f64_e32 v[48:49], s[22:23], v[185:186]
	s_delay_alu instid0(VALU_DEP_4) | instskip(NEXT) | instid1(VALU_DEP_2)
	v_add_f64_e32 v[38:39], v[40:41], v[38:39]
	v_fma_f64 v[50:51], v[153:154], s[8:9], -v[48:49]
	v_fma_f64 v[40:41], v[153:154], s[8:9], v[48:49]
	v_mul_f64_e32 v[48:49], s[24:25], v[60:61]
	s_delay_alu instid0(VALU_DEP_3) | instskip(SKIP_1) | instid1(VALU_DEP_4)
	v_add_f64_e32 v[32:33], v[50:51], v[32:33]
	v_mul_f64_e32 v[50:51], s[22:23], v[187:188]
	v_add_f64_e32 v[36:37], v[40:41], v[36:37]
	s_delay_alu instid0(VALU_DEP_2) | instskip(SKIP_2) | instid1(VALU_DEP_3)
	v_fma_f64 v[52:53], v[155:156], s[8:9], v[50:51]
	v_fma_f64 v[40:41], v[155:156], s[8:9], -v[50:51]
	v_mul_f64_e32 v[50:51], s[46:47], v[62:63]
	v_add_f64_e32 v[34:35], v[52:53], v[34:35]
	v_mul_f64_e32 v[52:53], s[40:41], v[197:198]
	s_delay_alu instid0(VALU_DEP_4) | instskip(NEXT) | instid1(VALU_DEP_2)
	v_add_f64_e32 v[38:39], v[40:41], v[38:39]
	v_fma_f64 v[54:55], v[161:162], s[54:55], v[52:53]
	v_fma_f64 v[40:41], v[161:162], s[38:39], v[52:53]
	;; [unrolled: 1-line block ×3, first 2 shown]
	s_delay_alu instid0(VALU_DEP_3) | instskip(SKIP_1) | instid1(VALU_DEP_4)
	v_add_f64_e32 v[32:33], v[54:55], v[32:33]
	v_mul_f64_e32 v[54:55], s[38:39], v[201:202]
	v_add_f64_e32 v[36:37], v[40:41], v[36:37]
	s_delay_alu instid0(VALU_DEP_2) | instskip(SKIP_1) | instid1(VALU_DEP_2)
	v_fma_f64 v[247:248], v[163:164], s[40:41], v[54:55]
	v_fma_f64 v[40:41], v[163:164], s[40:41], -v[54:55]
	v_add_f64_e32 v[34:35], v[247:248], v[34:35]
	v_mul_f64_e32 v[247:248], s[16:17], v[233:234]
	s_delay_alu instid0(VALU_DEP_3) | instskip(NEXT) | instid1(VALU_DEP_2)
	v_add_f64_e32 v[38:39], v[40:41], v[38:39]
	v_fma_f64 v[251:252], v[169:170], s[30:31], v[247:248]
	v_fma_f64 v[40:41], v[169:170], s[50:51], v[247:248]
	s_delay_alu instid0(VALU_DEP_2) | instskip(SKIP_1) | instid1(VALU_DEP_3)
	v_add_f64_e32 v[32:33], v[251:252], v[32:33]
	v_mul_f64_e32 v[251:252], s[50:51], v[235:236]
	v_add_f64_e32 v[36:37], v[40:41], v[36:37]
	s_delay_alu instid0(VALU_DEP_2) | instskip(SKIP_1) | instid1(VALU_DEP_2)
	v_fma_f64 v[253:254], v[171:172], s[16:17], v[251:252]
	v_fma_f64 v[40:41], v[171:172], s[16:17], -v[251:252]
	v_add_f64_e32 v[34:35], v[253:254], v[34:35]
	v_mul_f64_e32 v[253:254], s[0:1], v[237:238]
	s_delay_alu instid0(VALU_DEP_3) | instskip(NEXT) | instid1(VALU_DEP_2)
	v_add_f64_e32 v[38:39], v[40:41], v[38:39]
	v_fma_f64 v[249:250], v[181:182], s[42:43], v[253:254]
	v_fma_f64 v[40:41], v[181:182], s[14:15], v[253:254]
	s_delay_alu instid0(VALU_DEP_2) | instskip(SKIP_1) | instid1(VALU_DEP_3)
	;; [unrolled: 13-line block ×3, first 2 shown]
	v_add_f64_e32 v[32:33], v[127:128], v[32:33]
	v_mul_f64_e32 v[127:128], s[24:25], v[243:244]
	v_add_f64_e32 v[36:37], v[40:41], v[36:37]
	v_fma_f64 v[40:41], v[129:130], s[26:27], -v[44:45]
	v_fma_f64 v[44:45], v[129:130], s[26:27], v[44:45]
	s_delay_alu instid0(VALU_DEP_4) | instskip(SKIP_1) | instid1(VALU_DEP_4)
	v_fma_f64 v[42:43], v[195:196], s[26:27], -v[127:128]
	v_fma_f64 v[131:132], v[195:196], s[26:27], v[127:128]
	v_add_f64_e32 v[40:41], v[4:5], v[40:41]
	s_delay_alu instid0(VALU_DEP_4) | instskip(NEXT) | instid1(VALU_DEP_4)
	v_add_f64_e32 v[44:45], v[4:5], v[44:45]
	v_add_f64_e32 v[38:39], v[42:43], v[38:39]
	v_fma_f64 v[42:43], v[133:134], s[18:19], -v[46:47]
	v_add_f64_e32 v[34:35], v[131:132], v[34:35]
	v_fma_f64 v[46:47], v[133:134], s[18:19], v[46:47]
	s_delay_alu instid0(VALU_DEP_3) | instskip(SKIP_1) | instid1(VALU_DEP_3)
	v_add_f64_e32 v[40:41], v[42:43], v[40:41]
	v_fma_f64 v[42:43], v[139:140], s[26:27], v[48:49]
	v_add_f64_e32 v[44:45], v[46:47], v[44:45]
	v_fma_f64 v[46:47], v[139:140], s[26:27], -v[48:49]
	v_fma_f64 v[48:49], v[137:138], s[18:19], -v[50:51]
	s_delay_alu instid0(VALU_DEP_4) | instskip(NEXT) | instid1(VALU_DEP_3)
	v_add_f64_e32 v[42:43], v[6:7], v[42:43]
	v_add_f64_e32 v[46:47], v[6:7], v[46:47]
	s_delay_alu instid0(VALU_DEP_2) | instskip(SKIP_1) | instid1(VALU_DEP_3)
	v_add_f64_e32 v[42:43], v[52:53], v[42:43]
	v_mul_f64_e32 v[52:53], s[14:15], v[173:174]
	v_add_f64_e32 v[46:47], v[48:49], v[46:47]
	s_delay_alu instid0(VALU_DEP_2) | instskip(SKIP_2) | instid1(VALU_DEP_3)
	v_fma_f64 v[54:55], v[145:146], s[0:1], -v[52:53]
	v_fma_f64 v[48:49], v[145:146], s[0:1], v[52:53]
	v_mul_f64_e32 v[52:53], s[34:35], v[56:57]
	v_add_f64_e32 v[40:41], v[54:55], v[40:41]
	v_mul_f64_e32 v[54:55], s[14:15], v[175:176]
	s_delay_alu instid0(VALU_DEP_4) | instskip(NEXT) | instid1(VALU_DEP_2)
	v_add_f64_e32 v[44:45], v[48:49], v[44:45]
	v_fma_f64 v[125:126], v[147:148], s[0:1], v[54:55]
	v_fma_f64 v[48:49], v[147:148], s[0:1], -v[54:55]
	v_mul_f64_e32 v[54:55], s[44:45], v[58:59]
	s_delay_alu instid0(VALU_DEP_3) | instskip(SKIP_1) | instid1(VALU_DEP_4)
	v_add_f64_e32 v[42:43], v[125:126], v[42:43]
	v_mul_f64_e32 v[125:126], s[34:35], v[185:186]
	v_add_f64_e32 v[46:47], v[48:49], v[46:47]
	s_delay_alu instid0(VALU_DEP_2) | instskip(SKIP_3) | instid1(VALU_DEP_4)
	v_fma_f64 v[127:128], v[153:154], s[36:37], -v[125:126]
	v_fma_f64 v[48:49], v[153:154], s[36:37], v[125:126]
	v_mul_f64_e32 v[125:126], s[34:35], v[60:61]
	v_mul_f64_e32 v[60:61], s[38:39], v[60:61]
	v_add_f64_e32 v[40:41], v[127:128], v[40:41]
	v_mul_f64_e32 v[127:128], s[34:35], v[187:188]
	v_add_f64_e32 v[44:45], v[48:49], v[44:45]
	s_delay_alu instid0(VALU_DEP_2) | instskip(SKIP_3) | instid1(VALU_DEP_4)
	v_fma_f64 v[131:132], v[155:156], s[36:37], v[127:128]
	v_fma_f64 v[48:49], v[155:156], s[36:37], -v[127:128]
	v_mul_f64_e32 v[127:128], s[44:45], v[62:63]
	v_mul_f64_e32 v[62:63], s[42:43], v[62:63]
	v_add_f64_e32 v[42:43], v[131:132], v[42:43]
	v_mul_f64_e32 v[131:132], s[16:17], v[197:198]
	v_add_f64_e32 v[46:47], v[48:49], v[46:47]
	s_delay_alu instid0(VALU_DEP_2) | instskip(SKIP_2) | instid1(VALU_DEP_3)
	v_fma_f64 v[247:248], v[161:162], s[30:31], v[131:132]
	v_fma_f64 v[48:49], v[161:162], s[50:51], v[131:132]
	;; [unrolled: 1-line block ×3, first 2 shown]
	v_add_f64_e32 v[40:41], v[247:248], v[40:41]
	v_mul_f64_e32 v[247:248], s[50:51], v[201:202]
	s_delay_alu instid0(VALU_DEP_4) | instskip(NEXT) | instid1(VALU_DEP_2)
	v_add_f64_e32 v[44:45], v[48:49], v[44:45]
	v_fma_f64 v[249:250], v[163:164], s[16:17], v[247:248]
	v_fma_f64 v[48:49], v[163:164], s[16:17], -v[247:248]
	s_delay_alu instid0(VALU_DEP_2) | instskip(SKIP_1) | instid1(VALU_DEP_3)
	v_add_f64_e32 v[42:43], v[249:250], v[42:43]
	v_mul_f64_e32 v[249:250], s[10:11], v[233:234]
	v_add_f64_e32 v[46:47], v[48:49], v[46:47]
	s_delay_alu instid0(VALU_DEP_2) | instskip(SKIP_1) | instid1(VALU_DEP_2)
	v_fma_f64 v[251:252], v[169:170], s[52:53], v[249:250]
	v_fma_f64 v[48:49], v[169:170], s[28:29], v[249:250]
	v_add_f64_e32 v[40:41], v[251:252], v[40:41]
	v_mul_f64_e32 v[251:252], s[28:29], v[235:236]
	s_delay_alu instid0(VALU_DEP_3) | instskip(NEXT) | instid1(VALU_DEP_2)
	v_add_f64_e32 v[44:45], v[48:49], v[44:45]
	v_fma_f64 v[253:254], v[171:172], s[10:11], v[251:252]
	v_fma_f64 v[48:49], v[171:172], s[10:11], -v[251:252]
	s_delay_alu instid0(VALU_DEP_2) | instskip(SKIP_1) | instid1(VALU_DEP_3)
	v_add_f64_e32 v[42:43], v[253:254], v[42:43]
	v_mul_f64_e32 v[253:254], s[40:41], v[237:238]
	v_add_f64_e32 v[46:47], v[48:49], v[46:47]
	s_delay_alu instid0(VALU_DEP_2) | instskip(SKIP_1) | instid1(VALU_DEP_2)
	v_fma_f64 v[135:136], v[181:182], s[54:55], v[253:254]
	v_fma_f64 v[48:49], v[181:182], s[38:39], v[253:254]
	v_add_f64_e32 v[40:41], v[135:136], v[40:41]
	v_mul_f64_e32 v[135:136], s[38:39], v[239:240]
	s_delay_alu instid0(VALU_DEP_3) | instskip(NEXT) | instid1(VALU_DEP_2)
	v_add_f64_e32 v[44:45], v[48:49], v[44:45]
	v_fma_f64 v[141:142], v[183:184], s[40:41], v[135:136]
	v_fma_f64 v[48:49], v[183:184], s[40:41], -v[135:136]
	s_delay_alu instid0(VALU_DEP_2) | instskip(SKIP_1) | instid1(VALU_DEP_3)
	v_add_f64_e32 v[42:43], v[141:142], v[42:43]
	v_mul_f64_e32 v[141:142], s[8:9], v[241:242]
	v_add_f64_e32 v[46:47], v[48:49], v[46:47]
	s_delay_alu instid0(VALU_DEP_2) | instskip(SKIP_1) | instid1(VALU_DEP_2)
	v_fma_f64 v[143:144], v[193:194], s[22:23], v[141:142]
	v_fma_f64 v[48:49], v[193:194], s[44:45], v[141:142]
	v_add_f64_e32 v[40:41], v[143:144], v[40:41]
	v_mul_f64_e32 v[143:144], s[44:45], v[243:244]
	s_delay_alu instid0(VALU_DEP_3) | instskip(SKIP_2) | instid1(VALU_DEP_4)
	v_add_f64_e32 v[44:45], v[48:49], v[44:45]
	v_fma_f64 v[48:49], v[129:130], s[36:37], -v[52:53]
	v_fma_f64 v[52:53], v[129:130], s[36:37], v[52:53]
	v_fma_f64 v[50:51], v[195:196], s[8:9], -v[143:144]
	v_fma_f64 v[149:150], v[195:196], s[8:9], v[143:144]
	s_delay_alu instid0(VALU_DEP_4) | instskip(NEXT) | instid1(VALU_DEP_4)
	v_add_f64_e32 v[48:49], v[4:5], v[48:49]
	v_add_f64_e32 v[52:53], v[4:5], v[52:53]
	s_delay_alu instid0(VALU_DEP_4) | instskip(SKIP_3) | instid1(VALU_DEP_3)
	v_add_f64_e32 v[46:47], v[50:51], v[46:47]
	v_fma_f64 v[50:51], v[133:134], s[8:9], -v[54:55]
	v_add_f64_e32 v[42:43], v[149:150], v[42:43]
	v_fma_f64 v[54:55], v[133:134], s[8:9], v[54:55]
	v_add_f64_e32 v[48:49], v[50:51], v[48:49]
	v_fma_f64 v[50:51], v[139:140], s[36:37], v[125:126]
	s_delay_alu instid0(VALU_DEP_3) | instskip(SKIP_2) | instid1(VALU_DEP_4)
	v_add_f64_e32 v[52:53], v[54:55], v[52:53]
	v_fma_f64 v[54:55], v[139:140], s[36:37], -v[125:126]
	v_fma_f64 v[125:126], v[137:138], s[8:9], -v[127:128]
	v_add_f64_e32 v[50:51], v[6:7], v[50:51]
	s_delay_alu instid0(VALU_DEP_3) | instskip(NEXT) | instid1(VALU_DEP_2)
	v_add_f64_e32 v[54:55], v[6:7], v[54:55]
	v_add_f64_e32 v[50:51], v[131:132], v[50:51]
	v_mul_f64_e32 v[131:132], s[30:31], v[173:174]
	s_delay_alu instid0(VALU_DEP_3) | instskip(NEXT) | instid1(VALU_DEP_2)
	v_add_f64_e32 v[54:55], v[125:126], v[54:55]
	v_fma_f64 v[135:136], v[145:146], s[16:17], -v[131:132]
	v_fma_f64 v[125:126], v[145:146], s[16:17], v[131:132]
	v_fma_f64 v[131:132], v[137:138], s[0:1], v[62:63]
	v_fma_f64 v[62:63], v[137:138], s[0:1], -v[62:63]
	s_delay_alu instid0(VALU_DEP_4) | instskip(SKIP_2) | instid1(VALU_DEP_2)
	v_add_f64_e32 v[48:49], v[135:136], v[48:49]
	v_mul_f64_e32 v[135:136], s[30:31], v[175:176]
	v_add_f64_e32 v[52:53], v[125:126], v[52:53]
	v_fma_f64 v[141:142], v[147:148], s[16:17], v[135:136]
	v_fma_f64 v[125:126], v[147:148], s[16:17], -v[135:136]
	s_delay_alu instid0(VALU_DEP_2) | instskip(SKIP_1) | instid1(VALU_DEP_3)
	v_add_f64_e32 v[50:51], v[141:142], v[50:51]
	v_mul_f64_e32 v[141:142], s[56:57], v[185:186]
	v_add_f64_e32 v[54:55], v[125:126], v[54:55]
	s_delay_alu instid0(VALU_DEP_2) | instskip(SKIP_1) | instid1(VALU_DEP_2)
	v_fma_f64 v[143:144], v[153:154], s[26:27], -v[141:142]
	v_fma_f64 v[125:126], v[153:154], s[26:27], v[141:142]
	v_add_f64_e32 v[48:49], v[143:144], v[48:49]
	v_mul_f64_e32 v[143:144], s[56:57], v[187:188]
	s_delay_alu instid0(VALU_DEP_3) | instskip(NEXT) | instid1(VALU_DEP_2)
	v_add_f64_e32 v[52:53], v[125:126], v[52:53]
	v_fma_f64 v[149:150], v[155:156], s[26:27], v[143:144]
	v_fma_f64 v[125:126], v[155:156], s[26:27], -v[143:144]
	s_delay_alu instid0(VALU_DEP_2) | instskip(SKIP_1) | instid1(VALU_DEP_3)
	v_add_f64_e32 v[50:51], v[149:150], v[50:51]
	v_mul_f64_e32 v[149:150], s[0:1], v[197:198]
	v_add_f64_e32 v[54:55], v[125:126], v[54:55]
	s_delay_alu instid0(VALU_DEP_2) | instskip(SKIP_1) | instid1(VALU_DEP_2)
	v_fma_f64 v[247:248], v[161:162], s[42:43], v[149:150]
	v_fma_f64 v[125:126], v[161:162], s[14:15], v[149:150]
	v_add_f64_e32 v[48:49], v[247:248], v[48:49]
	v_mul_f64_e32 v[247:248], s[14:15], v[201:202]
	s_delay_alu instid0(VALU_DEP_3) | instskip(NEXT) | instid1(VALU_DEP_2)
	v_add_f64_e32 v[52:53], v[125:126], v[52:53]
	v_fma_f64 v[249:250], v[163:164], s[0:1], v[247:248]
	v_fma_f64 v[125:126], v[163:164], s[0:1], -v[247:248]
	s_delay_alu instid0(VALU_DEP_2) | instskip(SKIP_1) | instid1(VALU_DEP_3)
	v_add_f64_e32 v[50:51], v[249:250], v[50:51]
	v_mul_f64_e32 v[249:250], s[40:41], v[233:234]
	v_add_f64_e32 v[54:55], v[125:126], v[54:55]
	s_delay_alu instid0(VALU_DEP_2) | instskip(SKIP_1) | instid1(VALU_DEP_2)
	v_fma_f64 v[251:252], v[169:170], s[54:55], v[249:250]
	;; [unrolled: 13-line block ×4, first 2 shown]
	v_fma_f64 v[125:126], v[193:194], s[20:21], v[157:158]
	v_add_f64_e32 v[48:49], v[159:160], v[48:49]
	v_mul_f64_e32 v[159:160], s[20:21], v[243:244]
	s_delay_alu instid0(VALU_DEP_3) | instskip(SKIP_1) | instid1(VALU_DEP_3)
	v_add_f64_e32 v[52:53], v[125:126], v[52:53]
	v_mul_f64_e32 v[125:126], s[38:39], v[56:57]
	v_fma_f64 v[127:128], v[195:196], s[18:19], -v[159:160]
	v_fma_f64 v[165:166], v[195:196], s[18:19], v[159:160]
	s_delay_alu instid0(VALU_DEP_3) | instskip(SKIP_1) | instid1(VALU_DEP_4)
	v_fma_f64 v[56:57], v[129:130], s[40:41], -v[125:126]
	v_fma_f64 v[125:126], v[129:130], s[40:41], v[125:126]
	v_add_f64_e32 v[54:55], v[127:128], v[54:55]
	v_mul_f64_e32 v[127:128], s[42:43], v[58:59]
	s_delay_alu instid0(VALU_DEP_4) | instskip(NEXT) | instid1(VALU_DEP_4)
	v_add_f64_e32 v[56:57], v[4:5], v[56:57]
	v_add_f64_e32 v[125:126], v[4:5], v[125:126]
	;; [unrolled: 1-line block ×3, first 2 shown]
	s_delay_alu instid0(VALU_DEP_4) | instskip(SKIP_1) | instid1(VALU_DEP_2)
	v_fma_f64 v[58:59], v[133:134], s[0:1], -v[127:128]
	v_fma_f64 v[127:128], v[133:134], s[0:1], v[127:128]
	v_add_f64_e32 v[56:57], v[58:59], v[56:57]
	v_fma_f64 v[58:59], v[139:140], s[40:41], v[60:61]
	v_fma_f64 v[60:61], v[139:140], s[40:41], -v[60:61]
	s_delay_alu instid0(VALU_DEP_4) | instskip(NEXT) | instid1(VALU_DEP_3)
	v_add_f64_e32 v[125:126], v[127:128], v[125:126]
	v_add_f64_e32 v[58:59], v[6:7], v[58:59]
	s_delay_alu instid0(VALU_DEP_3) | instskip(NEXT) | instid1(VALU_DEP_2)
	v_add_f64_e32 v[60:61], v[6:7], v[60:61]
	v_add_f64_e32 v[58:59], v[131:132], v[58:59]
	v_mul_f64_e32 v[131:132], s[34:35], v[173:174]
	s_delay_alu instid0(VALU_DEP_3) | instskip(NEXT) | instid1(VALU_DEP_2)
	v_add_f64_e32 v[60:61], v[62:63], v[60:61]
	v_fma_f64 v[135:136], v[145:146], s[36:37], -v[131:132]
	v_fma_f64 v[62:63], v[145:146], s[36:37], v[131:132]
	s_delay_alu instid0(VALU_DEP_2) | instskip(SKIP_1) | instid1(VALU_DEP_3)
	v_add_f64_e32 v[56:57], v[135:136], v[56:57]
	v_mul_f64_e32 v[135:136], s[34:35], v[175:176]
	v_add_f64_e32 v[62:63], v[62:63], v[125:126]
	s_delay_alu instid0(VALU_DEP_2) | instskip(SKIP_1) | instid1(VALU_DEP_2)
	v_fma_f64 v[141:142], v[147:148], s[36:37], v[135:136]
	v_fma_f64 v[125:126], v[147:148], s[36:37], -v[135:136]
	v_add_f64_e32 v[58:59], v[141:142], v[58:59]
	v_mul_f64_e32 v[141:142], s[52:53], v[185:186]
	s_delay_alu instid0(VALU_DEP_3) | instskip(SKIP_1) | instid1(VALU_DEP_3)
	v_add_f64_e32 v[60:61], v[125:126], v[60:61]
	v_mul_f64_e32 v[185:186], s[50:51], v[243:244]
	v_fma_f64 v[143:144], v[153:154], s[10:11], -v[141:142]
	v_fma_f64 v[125:126], v[153:154], s[10:11], v[141:142]
	s_delay_alu instid0(VALU_DEP_3) | instskip(NEXT) | instid1(VALU_DEP_3)
	v_fma_f64 v[127:128], v[195:196], s[16:17], -v[185:186]
	v_add_f64_e32 v[56:57], v[143:144], v[56:57]
	v_mul_f64_e32 v[143:144], s[52:53], v[187:188]
	s_delay_alu instid0(VALU_DEP_4) | instskip(NEXT) | instid1(VALU_DEP_2)
	v_add_f64_e32 v[62:63], v[125:126], v[62:63]
	v_fma_f64 v[149:150], v[155:156], s[10:11], v[143:144]
	v_fma_f64 v[125:126], v[155:156], s[10:11], -v[143:144]
	s_delay_alu instid0(VALU_DEP_2) | instskip(SKIP_1) | instid1(VALU_DEP_3)
	v_add_f64_e32 v[58:59], v[149:150], v[58:59]
	v_mul_f64_e32 v[149:150], s[26:27], v[197:198]
	v_add_f64_e32 v[60:61], v[125:126], v[60:61]
	s_delay_alu instid0(VALU_DEP_2) | instskip(SKIP_1) | instid1(VALU_DEP_2)
	v_fma_f64 v[151:152], v[161:162], s[56:57], v[149:150]
	v_fma_f64 v[125:126], v[161:162], s[24:25], v[149:150]
	v_add_f64_e32 v[56:57], v[151:152], v[56:57]
	v_mul_f64_e32 v[151:152], s[24:25], v[201:202]
	s_delay_alu instid0(VALU_DEP_3) | instskip(NEXT) | instid1(VALU_DEP_2)
	v_add_f64_e32 v[62:63], v[125:126], v[62:63]
	v_fma_f64 v[157:158], v[163:164], s[26:27], v[151:152]
	v_fma_f64 v[125:126], v[163:164], s[26:27], -v[151:152]
	s_delay_alu instid0(VALU_DEP_2) | instskip(SKIP_1) | instid1(VALU_DEP_3)
	v_add_f64_e32 v[58:59], v[157:158], v[58:59]
	v_mul_f64_e32 v[157:158], s[8:9], v[233:234]
	v_add_f64_e32 v[60:61], v[125:126], v[60:61]
	s_delay_alu instid0(VALU_DEP_2) | instskip(SKIP_1) | instid1(VALU_DEP_2)
	v_fma_f64 v[159:160], v[169:170], s[22:23], v[157:158]
	v_fma_f64 v[125:126], v[169:170], s[44:45], v[157:158]
	v_add_f64_e32 v[56:57], v[159:160], v[56:57]
	v_mul_f64_e32 v[159:160], s[44:45], v[235:236]
	s_delay_alu instid0(VALU_DEP_3) | instskip(NEXT) | instid1(VALU_DEP_2)
	;; [unrolled: 13-line block ×3, first 2 shown]
	v_add_f64_e32 v[62:63], v[125:126], v[62:63]
	v_fma_f64 v[175:176], v[183:184], s[18:19], v[173:174]
	v_fma_f64 v[125:126], v[183:184], s[18:19], -v[173:174]
	s_delay_alu instid0(VALU_DEP_2) | instskip(SKIP_1) | instid1(VALU_DEP_3)
	v_add_f64_e32 v[58:59], v[175:176], v[58:59]
	v_mul_f64_e32 v[175:176], s[16:17], v[241:242]
	v_add_f64_e32 v[125:126], v[125:126], v[60:61]
	s_delay_alu instid0(VALU_DEP_2) | instskip(SKIP_1) | instid1(VALU_DEP_2)
	v_fma_f64 v[187:188], v[193:194], s[30:31], v[175:176]
	v_fma_f64 v[60:61], v[193:194], s[50:51], v[175:176]
	v_add_f64_e32 v[56:57], v[187:188], v[56:57]
	v_fma_f64 v[187:188], v[195:196], s[16:17], v[185:186]
	s_delay_alu instid0(VALU_DEP_3) | instskip(SKIP_2) | instid1(VALU_DEP_4)
	v_add_f64_e32 v[60:61], v[60:61], v[62:63]
	v_add_f64_e32 v[62:63], v[127:128], v[125:126]
	v_mul_lo_u16 v125, v255, 17
	v_add_f64_e32 v[58:59], v[187:188], v[58:59]
	s_and_saveexec_b32 s14, vcc_lo
	s_cbranch_execz .LBB0_7
; %bb.6:
	v_add_f64_e32 v[8:9], v[8:9], v[4:5]
	v_add_f64_e32 v[10:11], v[10:11], v[6:7]
	s_delay_alu instid0(VALU_DEP_2) | instskip(NEXT) | instid1(VALU_DEP_2)
	v_add_f64_e32 v[8:9], v[64:65], v[8:9]
	v_add_f64_e32 v[10:11], v[66:67], v[10:11]
	v_mul_f64_e32 v[66:67], s[10:11], v[129:130]
	v_mul_f64_e32 v[64:65], s[10:11], v[139:140]
	s_delay_alu instid0(VALU_DEP_4)
	v_add_f64_e32 v[8:9], v[68:69], v[8:9]
	v_mul_f64_e32 v[68:69], s[0:1], v[139:140]
	v_add_f64_e32 v[10:11], v[70:71], v[10:11]
	v_mul_f64_e32 v[70:71], s[0:1], v[129:130]
	v_add_f64_e64 v[66:67], v[66:67], -v[227:228]
	v_add_f64_e32 v[64:65], v[231:232], v[64:65]
	v_add_f64_e32 v[8:9], v[76:77], v[8:9]
	v_mul_f64_e32 v[76:77], s[16:17], v[137:138]
	v_add_f64_e32 v[10:11], v[78:79], v[10:11]
	v_mul_f64_e32 v[78:79], s[16:17], v[133:134]
	v_add_f64_e32 v[66:67], v[4:5], v[66:67]
	v_add_f64_e32 v[64:65], v[6:7], v[64:65]
	;; [unrolled: 1-line block ×3, first 2 shown]
	v_mul_f64_e32 v[84:85], s[10:11], v[137:138]
	v_add_f64_e32 v[10:11], v[86:87], v[10:11]
	v_mul_f64_e32 v[86:87], s[10:11], v[133:134]
	v_add_f64_e64 v[78:79], v[78:79], -v[225:226]
	v_add_f64_e32 v[76:77], v[229:230], v[76:77]
	v_add_f64_e32 v[8:9], v[96:97], v[8:9]
	scratch_load_b64 v[96:97], off, off offset:52 th:TH_LOAD_LU ; 8-byte Folded Reload
	v_add_f64_e32 v[10:11], v[98:99], v[10:11]
	v_mul_f64_e32 v[98:99], s[8:9], v[147:148]
	v_add_f64_e32 v[66:67], v[78:79], v[66:67]
	v_mul_f64_e32 v[78:79], s[18:19], v[163:164]
	;; [unrolled: 2-line block ×3, first 2 shown]
	v_add_f64_e32 v[8:9], v[104:105], v[8:9]
	scratch_load_b64 v[104:105], off, off offset:44 th:TH_LOAD_LU ; 8-byte Folded Reload
	v_add_f64_e32 v[10:11], v[106:107], v[10:11]
	v_add_f64_e32 v[8:9], v[100:101], v[8:9]
	v_mul_f64_e32 v[100:101], s[26:27], v[145:146]
	s_delay_alu instid0(VALU_DEP_3) | instskip(SKIP_1) | instid1(VALU_DEP_4)
	v_add_f64_e32 v[10:11], v[102:103], v[10:11]
	v_mul_f64_e32 v[102:103], s[26:27], v[147:148]
	v_add_f64_e32 v[8:9], v[92:93], v[8:9]
	v_mul_f64_e32 v[92:93], s[40:41], v[153:154]
	s_delay_alu instid0(VALU_DEP_4)
	v_add_f64_e32 v[10:11], v[94:95], v[10:11]
	v_add_f64_e64 v[100:101], v[100:101], -v[221:222]
	v_mul_f64_e32 v[94:95], s[40:41], v[155:156]
	v_add_f64_e32 v[102:103], v[223:224], v[102:103]
	v_add_f64_e32 v[8:9], v[88:89], v[8:9]
	;; [unrolled: 1-line block ×3, first 2 shown]
	v_add_f64_e64 v[90:91], v[92:93], -v[217:218]
	v_add_f64_e32 v[66:67], v[100:101], v[66:67]
	v_add_f64_e32 v[88:89], v[219:220], v[94:95]
	;; [unrolled: 1-line block ×3, first 2 shown]
	v_mul_f64_e32 v[94:95], s[18:19], v[171:172]
	scratch_load_b64 v[92:93], off, off offset:84 th:TH_LOAD_LU ; 8-byte Folded Reload
	v_add_f64_e32 v[8:9], v[80:81], v[8:9]
	v_mul_f64_e32 v[80:81], s[24:25], v[169:170]
	v_add_f64_e32 v[10:11], v[82:83], v[10:11]
	v_mul_f64_e32 v[82:83], s[26:27], v[171:172]
	v_add_f64_e32 v[66:67], v[90:91], v[66:67]
	v_add_f64_e32 v[64:65], v[88:89], v[64:65]
	;; [unrolled: 1-line block ×4, first 2 shown]
	v_mul_f64_e32 v[72:73], s[44:45], v[181:182]
	v_add_f64_e32 v[10:11], v[74:75], v[10:11]
	v_mul_f64_e32 v[74:75], s[8:9], v[183:184]
	v_add_f64_e32 v[82:83], v[82:83], v[167:168]
	v_add_f64_e32 v[8:9], v[112:113], v[8:9]
	v_add_f64_e64 v[72:73], v[203:204], -v[72:73]
	v_add_f64_e32 v[10:11], v[114:115], v[10:11]
	v_add_f64_e32 v[74:75], v[74:75], v[207:208]
	s_delay_alu instid0(VALU_DEP_4) | instskip(NEXT) | instid1(VALU_DEP_3)
	v_add_f64_e32 v[8:9], v[108:109], v[8:9]
	v_add_f64_e32 v[10:11], v[110:111], v[10:11]
	s_wait_loadcnt 0x2
	v_add_f64_e32 v[68:69], v[96:97], v[68:69]
	scratch_load_b64 v[96:97], off, off offset:20 th:TH_LOAD_LU ; 8-byte Folded Reload
	v_add_f64_e32 v[8:9], v[116:117], v[8:9]
	s_wait_loadcnt 0x2
	v_add_f64_e32 v[84:85], v[104:105], v[84:85]
	scratch_load_b64 v[104:105], off, off offset:36 th:TH_LOAD_LU ; 8-byte Folded Reload
	v_add_f64_e32 v[6:7], v[6:7], v[68:69]
	v_mul_f64_e32 v[68:69], s[16:17], v[153:154]
	s_delay_alu instid0(VALU_DEP_2) | instskip(SKIP_1) | instid1(VALU_DEP_1)
	v_add_f64_e32 v[6:7], v[84:85], v[6:7]
	v_mul_f64_e32 v[84:85], s[48:49], v[161:162]
	v_add_f64_e64 v[84:85], v[213:214], -v[84:85]
	s_delay_alu instid0(VALU_DEP_1)
	v_add_f64_e32 v[66:67], v[84:85], v[66:67]
	v_mul_f64_e32 v[84:85], s[42:43], v[193:194]
	s_wait_loadcnt 0x1
	v_add_f64_e64 v[70:71], v[70:71], -v[96:97]
	v_mul_f64_e32 v[96:97], s[8:9], v[145:146]
	s_wait_loadcnt 0x0
	v_add_f64_e64 v[86:87], v[86:87], -v[104:105]
	scratch_load_b64 v[104:105], off, off offset:68 th:TH_LOAD_LU ; 8-byte Folded Reload
	v_add_f64_e32 v[4:5], v[4:5], v[70:71]
	v_mul_f64_e32 v[70:71], s[16:17], v[155:156]
	s_delay_alu instid0(VALU_DEP_2) | instskip(NEXT) | instid1(VALU_DEP_2)
	v_add_f64_e32 v[4:5], v[86:87], v[4:5]
	v_add_f64_e32 v[70:71], v[92:93], v[70:71]
	v_mul_f64_e32 v[86:87], s[36:37], v[163:164]
	scratch_load_b64 v[92:93], off, off offset:76 th:TH_LOAD_LU ; 8-byte Folded Reload
	v_add_f64_e32 v[86:87], v[86:87], v[215:216]
	s_delay_alu instid0(VALU_DEP_1) | instskip(SKIP_1) | instid1(VALU_DEP_2)
	v_add_f64_e32 v[64:65], v[86:87], v[64:65]
	v_mul_f64_e32 v[86:87], s[0:1], v[195:196]
	v_add_f64_e32 v[64:65], v[88:89], v[64:65]
	s_delay_alu instid0(VALU_DEP_1)
	v_add_f64_e32 v[64:65], v[74:75], v[64:65]
	s_wait_loadcnt 0x1
	v_add_f64_e32 v[98:99], v[104:105], v[98:99]
	scratch_load_b64 v[104:105], off, off offset:60 th:TH_LOAD_LU ; 8-byte Folded Reload
	v_add_f64_e32 v[6:7], v[98:99], v[6:7]
	s_wait_loadcnt 0x1
	v_add_f64_e64 v[68:69], v[68:69], -v[92:93]
	v_mul_f64_e32 v[92:93], s[46:47], v[169:170]
	s_delay_alu instid0(VALU_DEP_3) | instskip(SKIP_1) | instid1(VALU_DEP_3)
	v_add_f64_e32 v[6:7], v[70:71], v[6:7]
	v_mul_f64_e32 v[70:71], s[36:37], v[183:184]
	v_add_f64_e64 v[90:91], v[209:210], -v[92:93]
	scratch_load_b64 v[92:93], off, off offset:108 th:TH_LOAD_LU ; 8-byte Folded Reload
	v_add_f64_e32 v[70:71], v[70:71], v[179:180]
	v_add_f64_e32 v[66:67], v[90:91], v[66:67]
	s_delay_alu instid0(VALU_DEP_1) | instskip(SKIP_3) | instid1(VALU_DEP_1)
	v_add_f64_e32 v[66:67], v[72:73], v[66:67]
	v_add_f64_e32 v[72:73], v[118:119], v[10:11]
	s_wait_loadcnt 0x1
	v_add_f64_e64 v[96:97], v[96:97], -v[104:105]
	v_add_f64_e32 v[4:5], v[96:97], v[4:5]
	scratch_load_b64 v[96:97], off, off offset:100 th:TH_LOAD_LU ; 8-byte Folded Reload
	v_add_f64_e32 v[4:5], v[68:69], v[4:5]
	v_mul_f64_e32 v[68:69], s[34:35], v[181:182]
	s_wait_loadcnt 0x1
	v_add_f64_e64 v[80:81], v[92:93], -v[80:81]
	s_delay_alu instid0(VALU_DEP_2)
	v_add_f64_e64 v[68:69], v[177:178], -v[68:69]
	s_wait_loadcnt 0x0
	v_add_f64_e32 v[78:79], v[78:79], v[96:97]
	scratch_load_b64 v[96:97], off, off offset:92 th:TH_LOAD_LU ; 8-byte Folded Reload
	v_add_f64_e32 v[6:7], v[78:79], v[6:7]
	v_mul_f64_e32 v[78:79], s[40:41], v[195:196]
	s_delay_alu instid0(VALU_DEP_2) | instskip(SKIP_1) | instid1(VALU_DEP_3)
	v_add_f64_e32 v[6:7], v[82:83], v[6:7]
	v_add_f64_e64 v[82:83], v[199:200], -v[84:85]
	v_add_f64_e32 v[78:79], v[78:79], v[191:192]
	s_delay_alu instid0(VALU_DEP_3) | instskip(NEXT) | instid1(VALU_DEP_1)
	v_add_f64_e32 v[70:71], v[70:71], v[6:7]
	v_add_f64_e32 v[10:11], v[78:79], v[70:71]
	s_wait_loadcnt 0x0
	v_add_f64_e64 v[76:77], v[96:97], -v[76:77]
	s_delay_alu instid0(VALU_DEP_1) | instskip(SKIP_1) | instid1(VALU_DEP_2)
	v_add_f64_e32 v[4:5], v[76:77], v[4:5]
	v_mul_f64_e32 v[76:77], s[38:39], v[193:194]
	v_add_f64_e32 v[4:5], v[80:81], v[4:5]
	v_add_f64_e32 v[80:81], v[86:87], v[205:206]
	s_delay_alu instid0(VALU_DEP_3) | instskip(NEXT) | instid1(VALU_DEP_3)
	v_add_f64_e64 v[76:77], v[189:190], -v[76:77]
	v_add_f64_e32 v[68:69], v[68:69], v[4:5]
	s_delay_alu instid0(VALU_DEP_3)
	v_add_f64_e32 v[6:7], v[80:81], v[64:65]
	v_add_f64_e32 v[64:65], v[120:121], v[8:9]
	;; [unrolled: 1-line block ×5, first 2 shown]
	scratch_load_b32 v69, off, off          ; 4-byte Folded Reload
	v_and_b32_e32 v68, 0xffff, v125
	s_wait_loadcnt 0x0
	s_delay_alu instid0(VALU_DEP_1)
	v_add_lshl_u32 v68, v69, v68, 4
	ds_store_b128 v68, v[24:27] offset:64
	ds_store_b128 v68, v[32:35] offset:80
	;; [unrolled: 1-line block ×14, first 2 shown]
	ds_store_b128 v68, v[64:67]
	ds_store_b128 v68, v[8:11] offset:16
	ds_store_b128 v68, v[0:3] offset:256
.LBB0_7:
	s_wait_alu 0xfffe
	s_or_b32 exec_lo, exec_lo, s14
	v_lshlrev_b32_e32 v4, 5, v255
	s_load_b128 s[0:3], s[2:3], 0x0
	global_wb scope:SCOPE_SE
	s_wait_dscnt 0x0
	s_wait_kmcnt 0x0
	s_barrier_signal -1
	s_barrier_wait -1
	global_inv scope:SCOPE_SE
	s_clause 0x1
	global_load_b128 v[189:192], v4, s[6:7]
	global_load_b128 v[193:196], v4, s[6:7] offset:16
	scratch_load_b32 v4, off, off           ; 4-byte Folded Reload
	s_mov_b32 s6, 0xe8584caa
	s_mov_b32 s7, 0x3febb67a
	;; [unrolled: 1-line block ×3, first 2 shown]
	s_wait_alu 0xfffe
	s_mov_b32 s8, s6
	s_wait_loadcnt 0x0
	v_add_lshl_u32 v92, v4, v255, 4
	ds_load_b128 v[64:67], v92 offset:272
	ds_load_b128 v[68:71], v92 offset:544
	scratch_load_b32 v4, off, off offset:4  ; 4-byte Folded Reload
	s_wait_dscnt 0x1
	v_mul_f64_e32 v[72:73], v[66:67], v[191:192]
	s_wait_dscnt 0x0
	v_mul_f64_e32 v[74:75], v[70:71], v[195:196]
	v_mul_f64_e32 v[76:77], v[64:65], v[191:192]
	;; [unrolled: 1-line block ×3, first 2 shown]
	s_delay_alu instid0(VALU_DEP_4) | instskip(NEXT) | instid1(VALU_DEP_4)
	v_fma_f64 v[72:73], v[64:65], v[189:190], -v[72:73]
	v_fma_f64 v[68:69], v[68:69], v[193:194], -v[74:75]
	s_delay_alu instid0(VALU_DEP_4) | instskip(NEXT) | instid1(VALU_DEP_4)
	v_fma_f64 v[74:75], v[66:67], v[189:190], v[76:77]
	v_fma_f64 v[70:71], v[70:71], v[193:194], v[78:79]
	ds_load_b128 v[64:67], v92
	s_wait_dscnt 0x0
	v_add_f64_e32 v[80:81], v[64:65], v[72:73]
	v_add_f64_e32 v[76:77], v[72:73], v[68:69]
	v_add_f64_e64 v[84:85], v[72:73], -v[68:69]
	v_add_f64_e32 v[78:79], v[74:75], v[70:71]
	v_add_f64_e64 v[82:83], v[74:75], -v[70:71]
	v_add_f64_e32 v[74:75], v[66:67], v[74:75]
	v_fma_f64 v[76:77], v[76:77], -0.5, v[64:65]
	v_add_f64_e32 v[64:65], v[80:81], v[68:69]
	v_fma_f64 v[78:79], v[78:79], -0.5, v[66:67]
	s_delay_alu instid0(VALU_DEP_4) | instskip(NEXT) | instid1(VALU_DEP_4)
	v_add_f64_e32 v[66:67], v[74:75], v[70:71]
	v_fma_f64 v[68:69], v[82:83], s[6:7], v[76:77]
	s_wait_alu 0xfffe
	v_fma_f64 v[72:73], v[82:83], s[8:9], v[76:77]
	s_delay_alu instid0(VALU_DEP_4)
	v_fma_f64 v[70:71], v[84:85], s[8:9], v[78:79]
	v_fma_f64 v[74:75], v[84:85], s[6:7], v[78:79]
	s_wait_loadcnt 0x0
	v_lshl_add_u32 v93, v255, 4, v4
	ds_store_b128 v93, v[64:67]
	ds_store_b128 v93, v[68:71] offset:272
	ds_store_b128 v93, v[72:75] offset:544
	global_wb scope:SCOPE_SE
	s_wait_dscnt 0x0
	s_barrier_signal -1
	s_barrier_wait -1
	global_inv scope:SCOPE_SE
	s_and_saveexec_b32 s8, vcc_lo
	s_cbranch_execz .LBB0_9
; %bb.8:
	global_load_b128 v[76:79], v246, s[4:5] offset:816
	s_add_nc_u64 s[6:7], s[4:5], 0x330
	s_clause 0x3
	global_load_b128 v[80:83], v246, s[6:7] offset:48
	global_load_b128 v[84:87], v246, s[6:7] offset:96
	;; [unrolled: 1-line block ×4, first 2 shown]
	ds_load_b128 v[98:101], v93
	ds_load_b128 v[102:105], v93 offset:48
	ds_load_b128 v[106:109], v93 offset:96
	s_wait_loadcnt_dscnt 0x301
	v_mul_f64_e32 v[114:115], v[104:105], v[82:83]
	v_mul_f64_e32 v[110:111], v[100:101], v[78:79]
	;; [unrolled: 1-line block ×4, first 2 shown]
	s_delay_alu instid0(VALU_DEP_4) | instskip(NEXT) | instid1(VALU_DEP_4)
	v_fma_f64 v[102:103], v[102:103], v[80:81], -v[114:115]
	v_fma_f64 v[98:99], v[98:99], v[76:77], -v[110:111]
	s_delay_alu instid0(VALU_DEP_4)
	v_fma_f64 v[100:101], v[100:101], v[76:77], v[78:79]
	ds_load_b128 v[76:79], v93 offset:144
	global_load_b128 v[110:113], v246, s[6:7] offset:240
	v_fma_f64 v[104:105], v[104:105], v[80:81], v[82:83]
	s_wait_loadcnt_dscnt 0x301
	v_mul_f64_e32 v[80:81], v[108:109], v[86:87]
	v_mul_f64_e32 v[82:83], v[106:107], v[86:87]
	s_wait_loadcnt_dscnt 0x200
	v_mul_f64_e32 v[114:115], v[78:79], v[90:91]
	v_mul_f64_e32 v[90:91], v[76:77], v[90:91]
	s_delay_alu instid0(VALU_DEP_4) | instskip(NEXT) | instid1(VALU_DEP_4)
	v_fma_f64 v[80:81], v[106:107], v[84:85], -v[80:81]
	v_fma_f64 v[82:83], v[108:109], v[84:85], v[82:83]
	ds_load_b128 v[84:87], v93 offset:192
	ds_load_b128 v[106:109], v93 offset:240
	v_fma_f64 v[76:77], v[76:77], v[88:89], -v[114:115]
	v_fma_f64 v[78:79], v[78:79], v[88:89], v[90:91]
	global_load_b128 v[88:91], v246, s[6:7] offset:288
	s_wait_loadcnt_dscnt 0x201
	v_mul_f64_e32 v[114:115], v[86:87], v[96:97]
	v_mul_f64_e32 v[96:97], v[84:85], v[96:97]
	s_delay_alu instid0(VALU_DEP_2) | instskip(NEXT) | instid1(VALU_DEP_2)
	v_fma_f64 v[84:85], v[84:85], v[94:95], -v[114:115]
	v_fma_f64 v[86:87], v[86:87], v[94:95], v[96:97]
	global_load_b128 v[94:97], v246, s[6:7] offset:336
	s_wait_loadcnt_dscnt 0x200
	v_mul_f64_e32 v[114:115], v[108:109], v[112:113]
	v_mul_f64_e32 v[112:113], v[106:107], v[112:113]
	s_delay_alu instid0(VALU_DEP_2) | instskip(NEXT) | instid1(VALU_DEP_2)
	v_fma_f64 v[106:107], v[106:107], v[110:111], -v[114:115]
	v_fma_f64 v[108:109], v[108:109], v[110:111], v[112:113]
	ds_load_b128 v[110:113], v93 offset:288
	ds_load_b128 v[114:117], v93 offset:336
	s_wait_loadcnt_dscnt 0x101
	v_mul_f64_e32 v[118:119], v[112:113], v[90:91]
	v_mul_f64_e32 v[90:91], v[110:111], v[90:91]
	s_delay_alu instid0(VALU_DEP_2) | instskip(NEXT) | instid1(VALU_DEP_2)
	v_fma_f64 v[110:111], v[110:111], v[88:89], -v[118:119]
	v_fma_f64 v[112:113], v[112:113], v[88:89], v[90:91]
	s_wait_loadcnt_dscnt 0x0
	v_mul_f64_e32 v[88:89], v[116:117], v[96:97]
	v_mul_f64_e32 v[90:91], v[114:115], v[96:97]
	s_delay_alu instid0(VALU_DEP_2) | instskip(NEXT) | instid1(VALU_DEP_2)
	v_fma_f64 v[88:89], v[114:115], v[94:95], -v[88:89]
	v_fma_f64 v[90:91], v[116:117], v[94:95], v[90:91]
	s_clause 0x1
	global_load_b128 v[94:97], v246, s[6:7] offset:384
	global_load_b128 v[114:117], v246, s[6:7] offset:432
	ds_load_b128 v[118:121], v93 offset:384
	ds_load_b128 v[125:128], v93 offset:432
	s_wait_loadcnt_dscnt 0x101
	v_mul_f64_e32 v[122:123], v[120:121], v[96:97]
	v_mul_f64_e32 v[96:97], v[118:119], v[96:97]
	s_delay_alu instid0(VALU_DEP_2) | instskip(NEXT) | instid1(VALU_DEP_2)
	v_fma_f64 v[118:119], v[118:119], v[94:95], -v[122:123]
	v_fma_f64 v[120:121], v[120:121], v[94:95], v[96:97]
	s_wait_loadcnt_dscnt 0x0
	v_mul_f64_e32 v[94:95], v[127:128], v[116:117]
	v_mul_f64_e32 v[96:97], v[125:126], v[116:117]
	s_delay_alu instid0(VALU_DEP_2) | instskip(NEXT) | instid1(VALU_DEP_2)
	v_fma_f64 v[94:95], v[125:126], v[114:115], -v[94:95]
	v_fma_f64 v[96:97], v[127:128], v[114:115], v[96:97]
	s_clause 0x1
	global_load_b128 v[114:117], v246, s[6:7] offset:480
	global_load_b128 v[125:128], v246, s[6:7] offset:528
	;; [unrolled: 17-line block ×4, first 2 shown]
	ds_load_b128 v[145:148], v93 offset:672
	ds_load_b128 v[149:152], v93 offset:720
	s_wait_loadcnt_dscnt 0x101
	v_mul_f64_e32 v[122:123], v[147:148], v[135:136]
	v_mul_f64_e32 v[135:136], v[145:146], v[135:136]
	s_delay_alu instid0(VALU_DEP_2) | instskip(NEXT) | instid1(VALU_DEP_2)
	v_fma_f64 v[145:146], v[145:146], v[133:134], -v[122:123]
	v_fma_f64 v[147:148], v[147:148], v[133:134], v[135:136]
	s_wait_loadcnt_dscnt 0x0
	v_mul_f64_e32 v[122:123], v[151:152], v[143:144]
	v_mul_f64_e32 v[135:136], v[149:150], v[143:144]
	s_delay_alu instid0(VALU_DEP_2) | instskip(NEXT) | instid1(VALU_DEP_2)
	v_fma_f64 v[133:134], v[149:150], v[141:142], -v[122:123]
	v_fma_f64 v[135:136], v[151:152], v[141:142], v[135:136]
	global_load_b128 v[141:144], v246, s[6:7] offset:768
	ds_load_b128 v[149:152], v93 offset:768
	s_wait_loadcnt_dscnt 0x0
	v_mul_f64_e32 v[122:123], v[151:152], v[143:144]
	v_mul_f64_e32 v[143:144], v[149:150], v[143:144]
	s_delay_alu instid0(VALU_DEP_2) | instskip(NEXT) | instid1(VALU_DEP_2)
	v_fma_f64 v[149:150], v[149:150], v[141:142], -v[122:123]
	v_fma_f64 v[151:152], v[151:152], v[141:142], v[143:144]
	ds_store_b128 v93, v[98:101]
	ds_store_b128 v93, v[102:105] offset:48
	ds_store_b128 v93, v[80:83] offset:96
	ds_store_b128 v93, v[76:79] offset:144
	ds_store_b128 v93, v[84:87] offset:192
	ds_store_b128 v93, v[106:109] offset:240
	ds_store_b128 v93, v[110:113] offset:288
	ds_store_b128 v93, v[88:91] offset:336
	ds_store_b128 v93, v[118:121] offset:384
	ds_store_b128 v93, v[94:97] offset:432
	ds_store_b128 v93, v[129:132] offset:480
	ds_store_b128 v93, v[114:117] offset:528
	ds_store_b128 v93, v[137:140] offset:576
	ds_store_b128 v93, v[125:128] offset:624
	ds_store_b128 v93, v[145:148] offset:672
	ds_store_b128 v93, v[133:136] offset:720
	ds_store_b128 v93, v[149:152] offset:768
.LBB0_9:
	s_wait_alu 0xfffe
	s_or_b32 exec_lo, exec_lo, s8
	global_wb scope:SCOPE_SE
	s_wait_dscnt 0x0
	s_barrier_signal -1
	s_barrier_wait -1
	global_inv scope:SCOPE_SE
	s_and_saveexec_b32 s6, vcc_lo
	s_cbranch_execz .LBB0_11
; %bb.10:
	ds_load_b128 v[64:67], v93
	ds_load_b128 v[68:71], v93 offset:48
	ds_load_b128 v[72:75], v93 offset:96
	;; [unrolled: 1-line block ×16, first 2 shown]
.LBB0_11:
	s_wait_alu 0xfffe
	s_or_b32 exec_lo, exec_lo, s6
	global_wb scope:SCOPE_SE
	s_wait_dscnt 0x0
	s_barrier_signal -1
	s_barrier_wait -1
	global_inv scope:SCOPE_SE
	s_and_saveexec_b32 s33, vcc_lo
	s_cbranch_execz .LBB0_13
; %bb.12:
	v_add_f64_e32 v[76:77], v[70:71], v[66:67]
	v_add_f64_e32 v[78:79], v[68:69], v[64:65]
	;; [unrolled: 1-line block ×3, first 2 shown]
	v_add_f64_e64 v[88:89], v[74:75], -v[14:15]
	s_mov_b32 s40, 0x6c9a05f6
	s_mov_b32 s41, 0xbfe9895b
	v_add_f64_e64 v[90:91], v[72:73], -v[12:13]
	s_mov_b32 s14, 0x6ed5f1bb
	s_mov_b32 s15, 0xbfe348c8
	;; [unrolled: 1-line block ×7, first 2 shown]
	s_wait_alu 0xfffe
	s_mov_b32 s44, s30
	s_mov_b32 s22, 0x3259b75e
	;; [unrolled: 1-line block ×6, first 2 shown]
	s_wait_alu 0xfffe
	s_mov_b32 s20, s42
	s_mov_b32 s52, 0x2a9d6da3
	s_mov_b32 s26, 0x2b2883cd
	s_mov_b32 s53, 0x3fe58eea
	s_mov_b32 s39, 0xbfe58eea
	s_wait_alu 0xfffe
	s_mov_b32 s38, s52
	s_mov_b32 s27, 0x3fdc86fa
	s_mov_b32 s28, 0x75d4884
	s_mov_b32 s29, 0x3fe7a5f6
	s_mov_b32 s48, 0xacd6c6b4
	s_mov_b32 s24, 0x4363dd80
	s_mov_b32 s36, 0x5d8e7cdc
	s_mov_b32 s49, 0xbfc7851a
	s_mov_b32 s25, 0xbfe0d888
	s_mov_b32 s37, 0x3fd71e95
	s_mov_b32 s17, 0xbfd71e95
	s_wait_alu 0xfffe
	s_mov_b32 s16, s36
	s_mov_b32 s10, 0x910ea3b9
	v_add_f64_e32 v[76:77], v[74:75], v[76:77]
	v_add_f64_e32 v[78:79], v[72:73], v[78:79]
	s_mov_b32 s6, 0x7faef3
	s_mov_b32 s34, 0x370991
	;; [unrolled: 1-line block ×7, first 2 shown]
	v_mul_f64_e32 v[163:164], s[22:23], v[80:81]
	s_mov_b32 s54, s48
	s_mov_b32 s51, 0x3feec746
	;; [unrolled: 1-line block ×3, first 2 shown]
	v_mul_f64_e32 v[167:168], s[26:27], v[80:81]
	v_mul_f64_e32 v[198:199], s[44:45], v[90:91]
	;; [unrolled: 1-line block ×3, first 2 shown]
	s_mov_b32 s57, 0x3fe0d888
	s_mov_b32 s56, s24
	s_wait_alu 0xfffe
	v_mul_f64_e32 v[224:225], s[34:35], v[80:81]
	v_mul_f64_e32 v[226:227], s[40:41], v[90:91]
	;; [unrolled: 1-line block ×4, first 2 shown]
	v_mov_b32_e32 v197, v245
	v_mul_f64_e32 v[244:245], s[48:49], v[90:91]
	v_add_f64_e32 v[76:77], v[18:19], v[76:77]
	v_add_f64_e32 v[78:79], v[16:17], v[78:79]
	s_delay_alu instid0(VALU_DEP_2) | instskip(NEXT) | instid1(VALU_DEP_2)
	v_add_f64_e32 v[76:77], v[26:27], v[76:77]
	v_add_f64_e32 v[78:79], v[24:25], v[78:79]
	s_delay_alu instid0(VALU_DEP_2) | instskip(NEXT) | instid1(VALU_DEP_2)
	;; [unrolled: 3-line block ×5, first 2 shown]
	v_add_f64_e32 v[82:83], v[58:59], v[76:77]
	v_add_f64_e32 v[84:85], v[56:57], v[78:79]
	v_add_f64_e64 v[78:79], v[56:57], -v[60:61]
	v_add_f64_e32 v[76:77], v[62:63], v[58:59]
	v_add_f64_e64 v[56:57], v[58:59], -v[62:63]
	v_add_f64_e32 v[58:59], v[54:55], v[50:51]
	v_add_f64_e32 v[82:83], v[62:63], v[82:83]
	;; [unrolled: 1-line block ×3, first 2 shown]
	v_add_f64_e64 v[62:63], v[48:49], -v[52:53]
	v_add_f64_e32 v[60:61], v[52:53], v[48:49]
	v_add_f64_e64 v[48:49], v[50:51], -v[54:55]
	v_add_f64_e32 v[50:51], v[46:47], v[42:43]
	v_mul_f64_e32 v[161:162], s[30:31], v[78:79]
	v_mul_f64_e32 v[165:166], s[42:43], v[78:79]
	;; [unrolled: 1-line block ×5, first 2 shown]
	v_add_f64_e32 v[82:83], v[54:55], v[82:83]
	v_add_f64_e32 v[84:85], v[52:53], v[84:85]
	v_add_f64_e64 v[54:55], v[40:41], -v[44:45]
	v_add_f64_e32 v[52:53], v[44:45], v[40:41]
	v_add_f64_e64 v[40:41], v[42:43], -v[46:47]
	v_add_f64_e32 v[42:43], v[38:39], v[34:35]
	v_mul_f64_e32 v[183:184], s[24:25], v[62:63]
	v_mul_f64_e32 v[6:7], s[10:11], v[60:61]
	;; [unrolled: 1-line block ×8, first 2 shown]
	v_add_f64_e32 v[82:83], v[46:47], v[82:83]
	v_add_f64_e32 v[84:85], v[44:45], v[84:85]
	v_add_f64_e64 v[46:47], v[32:33], -v[36:37]
	v_add_f64_e32 v[44:45], v[36:37], v[32:33]
	v_add_f64_e64 v[32:33], v[34:35], -v[38:39]
	v_add_f64_e32 v[34:35], v[26:27], v[30:31]
	v_mul_f64_e32 v[179:180], s[40:41], v[54:55]
	v_mul_f64_e32 v[10:11], s[14:15], v[52:53]
	;; [unrolled: 1-line block ×8, first 2 shown]
	v_add_f64_e32 v[86:87], v[38:39], v[82:83]
	v_add_f64_e32 v[36:37], v[36:37], v[84:85]
	v_add_f64_e64 v[82:83], v[26:27], -v[30:31]
	v_add_f64_e64 v[38:39], v[24:25], -v[28:29]
	v_add_f64_e32 v[24:25], v[24:25], v[28:29]
	v_add_f64_e32 v[26:27], v[18:19], v[22:23]
	v_add_f64_e64 v[84:85], v[18:19], -v[22:23]
	v_mul_f64_e32 v[175:176], s[8:9], v[46:47]
	v_mul_f64_e32 v[210:211], s[56:57], v[46:47]
	;; [unrolled: 1-line block ×6, first 2 shown]
	v_add_f64_e32 v[30:31], v[30:31], v[86:87]
	v_add_f64_e32 v[36:37], v[28:29], v[36:37]
	v_add_f64_e64 v[86:87], v[16:17], -v[20:21]
	v_add_f64_e32 v[28:29], v[16:17], v[20:21]
	v_mul_f64_e32 v[171:172], s[44:45], v[38:39]
	v_mul_f64_e32 v[206:207], s[48:49], v[38:39]
	;; [unrolled: 1-line block ×9, first 2 shown]
	v_add_f64_e32 v[16:17], v[22:23], v[30:31]
	v_add_f64_e32 v[18:19], v[20:21], v[36:37]
	;; [unrolled: 1-line block ×6, first 2 shown]
	v_mul_f64_e32 v[202:203], s[40:41], v[86:87]
	v_add_f64_e32 v[14:15], v[14:15], v[16:17]
	v_add_f64_e64 v[16:17], v[68:69], -v[0:1]
	v_add_f64_e32 v[12:13], v[12:13], v[18:19]
	v_add_f64_e64 v[18:19], v[70:71], -v[2:3]
	s_delay_alu instid0(VALU_DEP_4) | instskip(NEXT) | instid1(VALU_DEP_4)
	v_add_f64_e32 v[2:3], v[2:3], v[14:15]
	v_mul_f64_e32 v[68:69], s[40:41], v[16:17]
	s_delay_alu instid0(VALU_DEP_4) | instskip(NEXT) | instid1(VALU_DEP_4)
	v_add_f64_e32 v[0:1], v[0:1], v[12:13]
	v_mul_f64_e32 v[114:115], s[40:41], v[18:19]
	v_mul_f64_e32 v[70:71], s[8:9], v[16:17]
	;; [unrolled: 1-line block ×13, first 2 shown]
	v_fma_f64 v[100:101], v[20:21], s[14:15], v[68:69]
	v_fma_f64 v[68:69], v[20:21], s[14:15], -v[68:69]
	scratch_store_b128 off, v[0:3], off offset:20 ; 16-byte Folded Spill
	v_fma_f64 v[129:130], v[22:23], s[14:15], -v[114:115]
	v_fma_f64 v[114:115], v[22:23], s[14:15], v[114:115]
	v_fma_f64 v[102:103], v[20:21], s[18:19], v[70:71]
	v_fma_f64 v[131:132], v[22:23], s[18:19], -v[116:117]
	v_fma_f64 v[104:105], v[20:21], s[22:23], v[72:73]
	v_fma_f64 v[133:134], v[22:23], s[22:23], -v[118:119]
	;; [unrolled: 2-line block ×3, first 2 shown]
	v_fma_f64 v[108:109], v[20:21], s[28:29], -v[94:95]
	v_fma_f64 v[94:95], v[20:21], s[28:29], v[94:95]
	v_fma_f64 v[137:138], v[22:23], s[28:29], v[122:123]
	v_fma_f64 v[122:123], v[22:23], s[28:29], -v[122:123]
	v_fma_f64 v[96:97], v[20:21], s[6:7], v[12:13]
	v_fma_f64 v[12:13], v[20:21], s[6:7], -v[12:13]
	;; [unrolled: 2-line block ×3, first 2 shown]
	v_fma_f64 v[70:71], v[20:21], s[18:19], -v[70:71]
	v_fma_f64 v[72:73], v[20:21], s[22:23], -v[72:73]
	;; [unrolled: 1-line block ×3, first 2 shown]
	v_fma_f64 v[74:75], v[20:21], s[26:27], v[74:75]
	v_fma_f64 v[110:111], v[20:21], s[34:35], -v[16:17]
	v_fma_f64 v[16:17], v[20:21], s[34:35], v[16:17]
	v_mul_f64_e32 v[20:21], s[48:49], v[18:19]
	v_mul_f64_e32 v[18:19], s[16:17], v[18:19]
	v_fma_f64 v[127:128], v[22:23], s[10:11], -v[112:113]
	v_fma_f64 v[112:113], v[22:23], s[10:11], v[112:113]
	v_fma_f64 v[116:117], v[22:23], s[18:19], v[116:117]
	;; [unrolled: 1-line block ×3, first 2 shown]
	v_mul_f64_e32 v[2:3], s[6:7], v[80:81]
	v_add_f64_e32 v[100:101], v[66:67], v[100:101]
	v_add_f64_e32 v[0:1], v[66:67], v[68:69]
	v_add_f64_e32 v[129:130], v[64:65], v[129:130]
	v_add_f64_e32 v[135:136], v[64:65], v[135:136]
	v_add_f64_e32 v[98:99], v[66:67], v[98:99]
	v_add_f64_e32 v[141:142], v[66:67], v[14:15]
	v_add_f64_e32 v[68:69], v[66:67], v[70:71]
	v_add_f64_e32 v[151:152], v[66:67], v[72:73]
	v_add_f64_e32 v[106:107], v[66:67], v[106:107]
	v_fma_f64 v[125:126], v[22:23], s[6:7], -v[20:21]
	v_fma_f64 v[20:21], v[22:23], s[6:7], v[20:21]
	v_fma_f64 v[139:140], v[22:23], s[34:35], v[18:19]
	v_fma_f64 v[18:19], v[22:23], s[34:35], -v[18:19]
	v_add_f64_e32 v[22:23], v[66:67], v[96:97]
	v_add_f64_e32 v[127:128], v[64:65], v[127:128]
	;; [unrolled: 1-line block ×5, first 2 shown]
	v_mul_f64_e32 v[116:117], s[52:53], v[78:79]
	scratch_store_b64 off, v[0:1], off offset:116 ; 8-byte Folded Spill
	v_add_f64_e32 v[0:1], v[64:65], v[114:115]
	v_mul_f64_e32 v[114:115], s[38:39], v[88:89]
	v_add_f64_e32 v[96:97], v[64:65], v[125:126]
	v_add_f64_e32 v[125:126], v[66:67], v[12:13]
	;; [unrolled: 1-line block ×3, first 2 shown]
	scratch_store_b64 off, v[0:1], off offset:108 ; 8-byte Folded Spill
	v_add_f64_e32 v[0:1], v[66:67], v[102:103]
	v_add_f64_e32 v[102:103], v[66:67], v[108:109]
	;; [unrolled: 1-line block ×3, first 2 shown]
	scratch_store_b64 off, v[0:1], off offset:100 ; 8-byte Folded Spill
	v_add_f64_e32 v[0:1], v[64:65], v[131:132]
	scratch_store_b64 off, v[0:1], off offset:92 ; 8-byte Folded Spill
	v_add_f64_e32 v[0:1], v[66:67], v[104:105]
	v_add_f64_e32 v[104:105], v[66:67], v[110:111]
	;; [unrolled: 1-line block ×4, first 2 shown]
	scratch_store_b64 off, v[0:1], off offset:84 ; 8-byte Folded Spill
	v_add_f64_e32 v[0:1], v[64:65], v[133:134]
	scratch_store_b64 off, v[0:1], off offset:76 ; 8-byte Folded Spill
	v_add_f64_e32 v[0:1], v[64:65], v[120:121]
	v_mul_f64_e32 v[120:121], s[38:39], v[90:91]
	scratch_store_b64 off, v[0:1], off offset:68 ; 8-byte Folded Spill
	v_add_f64_e32 v[0:1], v[66:67], v[94:95]
	scratch_store_b64 off, v[0:1], off offset:60 ; 8-byte Folded Spill
	v_add_f64_e32 v[0:1], v[64:65], v[122:123]
	;; [unrolled: 2-line block ×3, first 2 shown]
	v_mul_f64_e32 v[16:17], s[36:37], v[90:91]
	v_mul_f64_e32 v[66:67], s[20:21], v[86:87]
	scratch_store_b64 off, v[0:1], off offset:44 ; 8-byte Folded Spill
	v_fma_f64 v[12:13], v[30:31], s[34:35], v[16:17]
	v_add_f64_e32 v[0:1], v[64:65], v[18:19]
	v_mul_f64_e32 v[18:19], s[36:37], v[88:89]
	v_fma_f64 v[16:17], v[30:31], s[34:35], -v[16:17]
	s_delay_alu instid0(VALU_DEP_4) | instskip(SKIP_1) | instid1(VALU_DEP_4)
	v_add_f64_e32 v[12:13], v[12:13], v[22:23]
	v_mul_f64_e32 v[22:23], s[24:25], v[86:87]
	v_fma_f64 v[14:15], v[36:37], s[34:35], -v[18:19]
	v_fma_f64 v[18:19], v[36:37], s[34:35], v[18:19]
	v_add_f64_e32 v[16:17], v[16:17], v[125:126]
	scratch_store_b64 off, v[0:1], off offset:36 ; 8-byte Folded Spill
	v_mul_f64_e32 v[0:1], s[50:51], v[84:85]
	v_fma_f64 v[72:73], v[26:27], s[10:11], v[22:23]
	v_add_f64_e32 v[14:15], v[14:15], v[96:97]
	v_add_f64_e32 v[18:19], v[18:19], v[20:21]
	v_fma_f64 v[20:21], v[26:27], s[10:11], -v[22:23]
	v_fma_f64 v[22:23], v[56:57], s[30:31], v[163:164]
	v_add_f64_e32 v[12:13], v[72:73], v[12:13]
	v_mul_f64_e32 v[72:73], s[24:25], v[84:85]
	s_delay_alu instid0(VALU_DEP_4) | instskip(NEXT) | instid1(VALU_DEP_2)
	v_add_f64_e32 v[16:17], v[20:21], v[16:17]
	v_fma_f64 v[74:75], v[28:29], s[10:11], -v[72:73]
	v_fma_f64 v[20:21], v[28:29], s[10:11], v[72:73]
	v_mul_f64_e32 v[72:73], s[42:43], v[90:91]
	s_delay_alu instid0(VALU_DEP_3) | instskip(SKIP_1) | instid1(VALU_DEP_4)
	v_add_f64_e32 v[14:15], v[74:75], v[14:15]
	v_mul_f64_e32 v[74:75], s[52:53], v[38:39]
	v_add_f64_e32 v[18:19], v[20:21], v[18:19]
	s_delay_alu instid0(VALU_DEP_2) | instskip(SKIP_2) | instid1(VALU_DEP_3)
	v_fma_f64 v[94:95], v[34:35], s[28:29], v[74:75]
	v_fma_f64 v[20:21], v[34:35], s[28:29], -v[74:75]
	v_mul_f64_e32 v[74:75], s[42:43], v[88:89]
	v_add_f64_e32 v[12:13], v[94:95], v[12:13]
	v_mul_f64_e32 v[94:95], s[52:53], v[82:83]
	s_delay_alu instid0(VALU_DEP_4) | instskip(NEXT) | instid1(VALU_DEP_2)
	v_add_f64_e32 v[16:17], v[20:21], v[16:17]
	v_fma_f64 v[96:97], v[24:25], s[28:29], -v[94:95]
	v_fma_f64 v[20:21], v[24:25], s[28:29], v[94:95]
	v_mul_f64_e32 v[94:95], s[44:45], v[86:87]
	s_delay_alu instid0(VALU_DEP_3) | instskip(SKIP_1) | instid1(VALU_DEP_4)
	v_add_f64_e32 v[14:15], v[96:97], v[14:15]
	v_mul_f64_e32 v[96:97], s[40:41], v[46:47]
	v_add_f64_e32 v[18:19], v[20:21], v[18:19]
	s_delay_alu instid0(VALU_DEP_2) | instskip(SKIP_3) | instid1(VALU_DEP_4)
	v_fma_f64 v[122:123], v[42:43], s[14:15], v[96:97]
	v_fma_f64 v[20:21], v[42:43], s[14:15], -v[96:97]
	v_fma_f64 v[96:97], v[26:27], s[22:23], v[94:95]
	v_fma_f64 v[94:95], v[26:27], s[22:23], -v[94:95]
	v_add_f64_e32 v[12:13], v[122:123], v[12:13]
	v_mul_f64_e32 v[122:123], s[14:15], v[44:45]
	v_add_f64_e32 v[16:17], v[20:21], v[16:17]
	s_delay_alu instid0(VALU_DEP_2) | instskip(SKIP_1) | instid1(VALU_DEP_2)
	v_fma_f64 v[139:140], v[32:33], s[46:47], v[122:123]
	v_fma_f64 v[20:21], v[32:33], s[40:41], v[122:123]
	v_add_f64_e32 v[14:15], v[139:140], v[14:15]
	v_mul_f64_e32 v[139:140], s[42:43], v[54:55]
	s_delay_alu instid0(VALU_DEP_3) | instskip(NEXT) | instid1(VALU_DEP_2)
	v_add_f64_e32 v[18:19], v[20:21], v[18:19]
	v_fma_f64 v[153:154], v[50:51], s[26:27], v[139:140]
	v_fma_f64 v[20:21], v[50:51], s[26:27], -v[139:140]
	s_delay_alu instid0(VALU_DEP_2) | instskip(SKIP_1) | instid1(VALU_DEP_3)
	v_add_f64_e32 v[12:13], v[153:154], v[12:13]
	v_mul_f64_e32 v[153:154], s[26:27], v[52:53]
	v_add_f64_e32 v[16:17], v[20:21], v[16:17]
	s_delay_alu instid0(VALU_DEP_2) | instskip(SKIP_1) | instid1(VALU_DEP_2)
	v_fma_f64 v[155:156], v[40:41], s[20:21], v[153:154]
	v_fma_f64 v[20:21], v[40:41], s[42:43], v[153:154]
	v_add_f64_e32 v[14:15], v[155:156], v[14:15]
	v_mul_f64_e32 v[155:156], s[8:9], v[62:63]
	s_delay_alu instid0(VALU_DEP_3) | instskip(NEXT) | instid1(VALU_DEP_2)
	v_add_f64_e32 v[18:19], v[20:21], v[18:19]
	v_fma_f64 v[157:158], v[58:59], s[18:19], v[155:156]
	v_fma_f64 v[20:21], v[58:59], s[18:19], -v[155:156]
	s_delay_alu instid0(VALU_DEP_2) | instskip(SKIP_1) | instid1(VALU_DEP_3)
	v_add_f64_e32 v[12:13], v[157:158], v[12:13]
	v_mul_f64_e32 v[157:158], s[18:19], v[60:61]
	v_add_f64_e32 v[16:17], v[20:21], v[16:17]
	s_delay_alu instid0(VALU_DEP_2) | instskip(SKIP_1) | instid1(VALU_DEP_2)
	v_fma_f64 v[20:21], v[48:49], s[8:9], v[157:158]
	v_fma_f64 v[159:160], v[48:49], s[50:51], v[157:158]
	v_add_f64_e32 v[20:21], v[20:21], v[18:19]
	s_delay_alu instid0(VALU_DEP_2)
	v_add_f64_e32 v[159:160], v[159:160], v[14:15]
	v_fma_f64 v[14:15], v[76:77], s[22:23], v[161:162]
	v_fma_f64 v[18:19], v[76:77], s[22:23], -v[161:162]
	v_mul_f64_e32 v[161:162], s[8:9], v[78:79]
	v_mul_f64_e32 v[78:79], s[40:41], v[78:79]
	v_add_f64_e32 v[143:144], v[22:23], v[20:21]
	v_fma_f64 v[20:21], v[30:31], s[26:27], v[72:73]
	v_fma_f64 v[22:23], v[36:37], s[26:27], -v[74:75]
	v_fma_f64 v[72:73], v[30:31], s[26:27], -v[72:73]
	v_fma_f64 v[74:75], v[36:37], s[26:27], v[74:75]
	v_add_f64_e32 v[149:150], v[14:15], v[12:13]
	v_fma_f64 v[12:13], v[56:57], s[44:45], v[163:164]
	v_mul_f64_e32 v[163:164], s[18:19], v[80:81]
	v_add_f64_e32 v[145:146], v[18:19], v[16:17]
	v_mul_f64_e32 v[16:17], s[44:45], v[82:83]
	v_fma_f64 v[18:19], v[42:43], s[26:27], -v[169:170]
	v_fma_f64 v[14:15], v[24:25], s[34:35], v[8:9]
	v_fma_f64 v[8:9], v[24:25], s[34:35], -v[8:9]
	v_add_f64_e32 v[20:21], v[20:21], v[98:99]
	v_add_f64_e32 v[22:23], v[22:23], v[127:128]
	v_add_f64_e32 v[72:73], v[72:73], v[141:142]
	v_add_f64_e32 v[74:75], v[74:75], v[112:113]
	v_mul_f64_e32 v[141:142], s[24:25], v[82:83]
	v_add_f64_e32 v[147:148], v[12:13], v[159:160]
	v_mul_f64_e32 v[12:13], s[18:19], v[44:45]
	v_add_f64_e32 v[20:21], v[96:97], v[20:21]
	;; [unrolled: 2-line block ×3, first 2 shown]
	s_delay_alu instid0(VALU_DEP_2) | instskip(SKIP_2) | instid1(VALU_DEP_3)
	v_fma_f64 v[98:99], v[28:29], s[22:23], -v[96:97]
	v_fma_f64 v[94:95], v[28:29], s[22:23], v[96:97]
	v_fma_f64 v[96:97], v[56:57], s[8:9], v[163:164]
	v_add_f64_e32 v[22:23], v[98:99], v[22:23]
	v_mul_f64_e32 v[98:99], s[46:47], v[38:39]
	s_delay_alu instid0(VALU_DEP_4) | instskip(NEXT) | instid1(VALU_DEP_2)
	v_add_f64_e32 v[74:75], v[94:95], v[74:75]
	v_fma_f64 v[122:123], v[34:35], s[14:15], v[98:99]
	v_fma_f64 v[94:95], v[34:35], s[14:15], -v[98:99]
	s_delay_alu instid0(VALU_DEP_2) | instskip(SKIP_1) | instid1(VALU_DEP_3)
	v_add_f64_e32 v[20:21], v[122:123], v[20:21]
	v_mul_f64_e32 v[122:123], s[46:47], v[82:83]
	v_add_f64_e32 v[72:73], v[94:95], v[72:73]
	v_mul_f64_e32 v[82:83], s[20:21], v[82:83]
	s_delay_alu instid0(VALU_DEP_3) | instskip(SKIP_2) | instid1(VALU_DEP_3)
	v_fma_f64 v[125:126], v[24:25], s[14:15], -v[122:123]
	v_fma_f64 v[94:95], v[24:25], s[14:15], v[122:123]
	v_mul_f64_e32 v[122:123], s[50:51], v[90:91]
	v_add_f64_e32 v[22:23], v[125:126], v[22:23]
	v_mul_f64_e32 v[125:126], s[16:17], v[46:47]
	s_delay_alu instid0(VALU_DEP_4) | instskip(NEXT) | instid1(VALU_DEP_2)
	v_add_f64_e32 v[74:75], v[94:95], v[74:75]
	v_fma_f64 v[127:128], v[42:43], s[34:35], v[125:126]
	v_fma_f64 v[94:95], v[42:43], s[34:35], -v[125:126]
	v_mul_f64_e32 v[125:126], s[50:51], v[88:89]
	s_delay_alu instid0(VALU_DEP_3) | instskip(SKIP_1) | instid1(VALU_DEP_4)
	v_add_f64_e32 v[20:21], v[127:128], v[20:21]
	v_mul_f64_e32 v[127:128], s[34:35], v[44:45]
	v_add_f64_e32 v[72:73], v[94:95], v[72:73]
	s_delay_alu instid0(VALU_DEP_2) | instskip(SKIP_2) | instid1(VALU_DEP_3)
	v_fma_f64 v[139:140], v[32:33], s[36:37], v[127:128]
	v_fma_f64 v[94:95], v[32:33], s[16:17], v[127:128]
	v_mul_f64_e32 v[127:128], s[16:17], v[86:87]
	v_add_f64_e32 v[22:23], v[139:140], v[22:23]
	v_mul_f64_e32 v[139:140], s[48:49], v[54:55]
	s_delay_alu instid0(VALU_DEP_4) | instskip(NEXT) | instid1(VALU_DEP_4)
	v_add_f64_e32 v[74:75], v[94:95], v[74:75]
	v_fma_f64 v[98:99], v[26:27], s[34:35], v[127:128]
	s_delay_alu instid0(VALU_DEP_3) | instskip(SKIP_3) | instid1(VALU_DEP_4)
	v_fma_f64 v[153:154], v[50:51], s[6:7], v[139:140]
	v_fma_f64 v[94:95], v[50:51], s[6:7], -v[139:140]
	v_mul_f64_e32 v[139:140], s[24:25], v[38:39]
	v_mul_f64_e32 v[38:39], s[20:21], v[38:39]
	v_add_f64_e32 v[20:21], v[153:154], v[20:21]
	v_mul_f64_e32 v[153:154], s[6:7], v[52:53]
	v_add_f64_e32 v[72:73], v[94:95], v[72:73]
	s_delay_alu instid0(VALU_DEP_2) | instskip(SKIP_2) | instid1(VALU_DEP_3)
	v_fma_f64 v[155:156], v[40:41], s[54:55], v[153:154]
	v_fma_f64 v[94:95], v[40:41], s[48:49], v[153:154]
	v_mul_f64_e32 v[153:154], s[30:31], v[46:47]
	v_add_f64_e32 v[22:23], v[155:156], v[22:23]
	v_mul_f64_e32 v[155:156], s[52:53], v[62:63]
	s_delay_alu instid0(VALU_DEP_4) | instskip(NEXT) | instid1(VALU_DEP_2)
	v_add_f64_e32 v[74:75], v[94:95], v[74:75]
	v_fma_f64 v[157:158], v[58:59], s[28:29], v[155:156]
	v_fma_f64 v[94:95], v[58:59], s[28:29], -v[155:156]
	v_mul_f64_e32 v[155:156], s[22:23], v[44:45]
	s_delay_alu instid0(VALU_DEP_3) | instskip(SKIP_1) | instid1(VALU_DEP_4)
	v_add_f64_e32 v[20:21], v[157:158], v[20:21]
	v_mul_f64_e32 v[157:158], s[28:29], v[60:61]
	v_add_f64_e32 v[72:73], v[94:95], v[72:73]
	s_delay_alu instid0(VALU_DEP_2) | instskip(SKIP_2) | instid1(VALU_DEP_3)
	v_fma_f64 v[94:95], v[48:49], s[52:53], v[157:158]
	v_fma_f64 v[159:160], v[48:49], s[38:39], v[157:158]
	v_mul_f64_e32 v[157:158], s[38:39], v[54:55]
	v_add_f64_e32 v[94:95], v[94:95], v[74:75]
	v_fma_f64 v[74:75], v[76:77], s[18:19], -v[161:162]
	s_delay_alu instid0(VALU_DEP_4)
	v_add_f64_e32 v[159:160], v[159:160], v[22:23]
	v_fma_f64 v[22:23], v[76:77], s[18:19], v[161:162]
	v_mul_f64_e32 v[161:162], s[48:49], v[62:63]
	v_mul_f64_e32 v[62:63], s[16:17], v[62:63]
	v_add_f64_e32 v[74:75], v[74:75], v[72:73]
	v_add_f64_e32 v[72:73], v[96:97], v[94:95]
	v_fma_f64 v[94:95], v[30:31], s[18:19], v[122:123]
	v_fma_f64 v[96:97], v[36:37], s[18:19], -v[125:126]
	v_add_f64_e32 v[133:134], v[22:23], v[20:21]
	v_fma_f64 v[20:21], v[56:57], s[50:51], v[163:164]
	v_mul_f64_e32 v[163:164], s[6:7], v[60:61]
	v_fma_f64 v[22:23], v[50:51], s[10:11], -v[173:174]
	v_mul_f64_e32 v[60:61], s[34:35], v[60:61]
	v_add_f64_e32 v[94:95], v[94:95], v[100:101]
	v_add_f64_e32 v[96:97], v[96:97], v[129:130]
	v_mul_f64_e32 v[129:130], s[16:17], v[84:85]
	v_add_f64_e32 v[131:132], v[20:21], v[159:160]
	v_mul_f64_e32 v[159:160], s[28:29], v[52:53]
	v_fma_f64 v[100:101], v[36:37], s[28:29], v[114:115]
	v_mul_f64_e32 v[20:21], s[20:21], v[84:85]
	v_mul_f64_e32 v[84:85], s[52:53], v[84:85]
	v_add_f64_e32 v[94:95], v[98:99], v[94:95]
	v_fma_f64 v[98:99], v[28:29], s[34:35], -v[129:130]
	v_add_f64_e32 v[100:101], v[100:101], v[108:109]
	v_fma_f64 v[108:109], v[26:27], s[14:15], -v[202:203]
	s_delay_alu instid0(VALU_DEP_3) | instskip(SKIP_1) | instid1(VALU_DEP_1)
	v_add_f64_e32 v[96:97], v[98:99], v[96:97]
	v_fma_f64 v[98:99], v[34:35], s[10:11], v[139:140]
	v_add_f64_e32 v[94:95], v[98:99], v[94:95]
	v_fma_f64 v[98:99], v[24:25], s[10:11], -v[141:142]
	s_delay_alu instid0(VALU_DEP_1) | instskip(SKIP_1) | instid1(VALU_DEP_1)
	v_add_f64_e32 v[96:97], v[98:99], v[96:97]
	v_fma_f64 v[98:99], v[42:43], s[22:23], v[153:154]
	v_add_f64_e32 v[94:95], v[98:99], v[94:95]
	v_fma_f64 v[98:99], v[32:33], s[44:45], v[155:156]
	s_delay_alu instid0(VALU_DEP_1) | instskip(SKIP_1) | instid1(VALU_DEP_1)
	v_add_f64_e32 v[96:97], v[98:99], v[96:97]
	v_fma_f64 v[98:99], v[50:51], s[28:29], v[157:158]
	v_add_f64_e32 v[94:95], v[98:99], v[94:95]
	v_fma_f64 v[98:99], v[40:41], s[52:53], v[159:160]
	;; [unrolled: 5-line block ×4, first 2 shown]
	s_delay_alu instid0(VALU_DEP_1) | instskip(SKIP_1) | instid1(VALU_DEP_1)
	v_add_f64_e32 v[94:95], v[94:95], v[98:99]
	v_fma_f64 v[98:99], v[30:31], s[28:29], -v[120:121]
	v_add_f64_e32 v[98:99], v[98:99], v[104:105]
	v_fma_f64 v[104:105], v[26:27], s[26:27], -v[66:67]
	s_delay_alu instid0(VALU_DEP_1) | instskip(SKIP_1) | instid1(VALU_DEP_1)
	v_add_f64_e32 v[98:99], v[104:105], v[98:99]
	v_fma_f64 v[104:105], v[28:29], s[26:27], v[20:21]
	v_add_f64_e32 v[100:101], v[104:105], v[100:101]
	v_fma_f64 v[104:105], v[34:35], s[22:23], -v[171:172]
	s_delay_alu instid0(VALU_DEP_1) | instskip(SKIP_1) | instid1(VALU_DEP_1)
	v_add_f64_e32 v[98:99], v[104:105], v[98:99]
	v_fma_f64 v[104:105], v[24:25], s[22:23], v[16:17]
	v_add_f64_e32 v[100:101], v[104:105], v[100:101]
	v_fma_f64 v[104:105], v[42:43], s[18:19], -v[175:176]
	s_delay_alu instid0(VALU_DEP_1) | instskip(SKIP_2) | instid1(VALU_DEP_2)
	v_add_f64_e32 v[98:99], v[104:105], v[98:99]
	v_fma_f64 v[104:105], v[32:33], s[8:9], v[12:13]
	v_fma_f64 v[12:13], v[32:33], s[50:51], v[12:13]
	v_add_f64_e32 v[100:101], v[104:105], v[100:101]
	v_fma_f64 v[104:105], v[50:51], s[14:15], -v[179:180]
	s_delay_alu instid0(VALU_DEP_1) | instskip(SKIP_2) | instid1(VALU_DEP_2)
	v_add_f64_e32 v[98:99], v[104:105], v[98:99]
	v_fma_f64 v[104:105], v[40:41], s[40:41], v[10:11]
	;; [unrolled: 6-line block ×4, first 2 shown]
	v_fma_f64 v[2:3], v[56:57], s[54:55], v[2:3]
	v_add_f64_e32 v[98:99], v[98:99], v[104:105]
	v_fma_f64 v[104:105], v[30:31], s[22:23], -v[198:199]
	s_delay_alu instid0(VALU_DEP_1) | instskip(SKIP_1) | instid1(VALU_DEP_2)
	v_add_f64_e32 v[102:103], v[104:105], v[102:103]
	v_fma_f64 v[104:105], v[36:37], s[22:23], v[200:201]
	v_add_f64_e32 v[102:103], v[108:109], v[102:103]
	s_delay_alu instid0(VALU_DEP_2) | instskip(SKIP_1) | instid1(VALU_DEP_1)
	v_add_f64_e32 v[104:105], v[104:105], v[110:111]
	v_fma_f64 v[108:109], v[28:29], s[14:15], v[204:205]
	v_add_f64_e32 v[104:105], v[108:109], v[104:105]
	v_fma_f64 v[108:109], v[34:35], s[6:7], -v[206:207]
	s_delay_alu instid0(VALU_DEP_1) | instskip(SKIP_1) | instid1(VALU_DEP_1)
	v_add_f64_e32 v[102:103], v[108:109], v[102:103]
	v_fma_f64 v[108:109], v[24:25], s[6:7], v[208:209]
	v_add_f64_e32 v[104:105], v[108:109], v[104:105]
	v_fma_f64 v[108:109], v[42:43], s[10:11], -v[210:211]
	s_delay_alu instid0(VALU_DEP_1) | instskip(SKIP_1) | instid1(VALU_DEP_1)
	;; [unrolled: 5-line block ×6, first 2 shown]
	v_add_f64_e32 v[106:107], v[108:109], v[106:107]
	v_fma_f64 v[108:109], v[36:37], s[14:15], v[228:229]
	v_add_f64_e32 v[108:109], v[108:109], v[135:136]
	v_mul_f64_e32 v[135:136], s[54:55], v[86:87]
	s_delay_alu instid0(VALU_DEP_1) | instskip(NEXT) | instid1(VALU_DEP_1)
	v_fma_f64 v[110:111], v[26:27], s[6:7], -v[135:136]
	v_add_f64_e32 v[106:107], v[110:111], v[106:107]
	v_fma_f64 v[110:111], v[28:29], s[6:7], v[230:231]
	s_delay_alu instid0(VALU_DEP_1) | instskip(SKIP_1) | instid1(VALU_DEP_1)
	v_add_f64_e32 v[108:109], v[110:111], v[108:109]
	v_fma_f64 v[110:111], v[34:35], s[18:19], -v[232:233]
	v_add_f64_e32 v[106:107], v[110:111], v[106:107]
	v_fma_f64 v[110:111], v[24:25], s[18:19], v[234:235]
	s_delay_alu instid0(VALU_DEP_1) | instskip(SKIP_1) | instid1(VALU_DEP_1)
	v_add_f64_e32 v[108:109], v[110:111], v[108:109]
	;; [unrolled: 5-line block ×6, first 2 shown]
	v_fma_f64 v[110:111], v[30:31], s[6:7], -v[244:245]
	v_add_f64_e32 v[110:111], v[110:111], v[151:152]
	v_mul_f64_e32 v[151:152], s[48:49], v[88:89]
	v_mul_f64_e32 v[88:89], s[56:57], v[88:89]
	s_delay_alu instid0(VALU_DEP_2) | instskip(NEXT) | instid1(VALU_DEP_1)
	v_fma_f64 v[112:113], v[36:37], s[6:7], v[151:152]
	v_add_f64_e32 v[112:113], v[112:113], v[118:119]
	v_mul_f64_e32 v[118:119], s[50:51], v[86:87]
	v_mul_f64_e32 v[86:87], s[52:53], v[86:87]
	s_delay_alu instid0(VALU_DEP_2) | instskip(NEXT) | instid1(VALU_DEP_1)
	v_fma_f64 v[64:65], v[26:27], s[18:19], -v[118:119]
	v_add_f64_e32 v[64:65], v[64:65], v[110:111]
	v_fma_f64 v[110:111], v[28:29], s[18:19], v[0:1]
	v_fma_f64 v[0:1], v[28:29], s[18:19], -v[0:1]
	s_delay_alu instid0(VALU_DEP_2) | instskip(SKIP_2) | instid1(VALU_DEP_3)
	v_add_f64_e32 v[110:111], v[110:111], v[112:113]
	v_fma_f64 v[112:113], v[34:35], s[34:35], -v[4:5]
	v_fma_f64 v[4:5], v[34:35], s[34:35], v[4:5]
	v_add_f64_e32 v[14:15], v[14:15], v[110:111]
	s_delay_alu instid0(VALU_DEP_3) | instskip(NEXT) | instid1(VALU_DEP_1)
	v_add_f64_e32 v[64:65], v[112:113], v[64:65]
	v_add_f64_e32 v[18:19], v[18:19], v[64:65]
	v_mul_f64_e32 v[64:65], s[26:27], v[44:45]
	s_delay_alu instid0(VALU_DEP_2) | instskip(NEXT) | instid1(VALU_DEP_2)
	v_add_f64_e32 v[18:19], v[22:23], v[18:19]
	v_fma_f64 v[110:111], v[32:33], s[20:21], v[64:65]
	v_mul_f64_e32 v[22:23], s[10:11], v[52:53]
	v_fma_f64 v[52:53], v[40:41], s[30:31], v[185:186]
	s_delay_alu instid0(VALU_DEP_3) | instskip(NEXT) | instid1(VALU_DEP_3)
	v_add_f64_e32 v[14:15], v[110:111], v[14:15]
	v_fma_f64 v[110:111], v[40:41], s[24:25], v[22:23]
	s_delay_alu instid0(VALU_DEP_1) | instskip(SKIP_1) | instid1(VALU_DEP_1)
	v_add_f64_e32 v[14:15], v[110:111], v[14:15]
	v_fma_f64 v[110:111], v[58:59], s[14:15], -v[177:178]
	v_add_f64_e32 v[18:19], v[110:111], v[18:19]
	v_fma_f64 v[110:111], v[48:49], s[46:47], v[181:182]
	s_delay_alu instid0(VALU_DEP_1) | instskip(SKIP_1) | instid1(VALU_DEP_1)
	v_add_f64_e32 v[14:15], v[110:111], v[14:15]
	v_fma_f64 v[110:111], v[76:77], s[28:29], -v[116:117]
	v_add_f64_e32 v[112:113], v[110:111], v[18:19]
	v_mul_f64_e32 v[18:19], s[28:29], v[80:81]
	v_mul_f64_e32 v[80:81], s[14:15], v[80:81]
	s_delay_alu instid0(VALU_DEP_2) | instskip(NEXT) | instid1(VALU_DEP_1)
	v_fma_f64 v[110:111], v[56:57], s[52:53], v[18:19]
	v_add_f64_e32 v[110:111], v[110:111], v[14:15]
	v_mul_f64_e32 v[14:15], s[56:57], v[90:91]
	s_delay_alu instid0(VALU_DEP_1) | instskip(SKIP_1) | instid1(VALU_DEP_2)
	v_fma_f64 v[90:91], v[30:31], s[10:11], -v[14:15]
	v_fma_f64 v[14:15], v[30:31], s[10:11], v[14:15]
	v_add_f64_e32 v[68:69], v[90:91], v[68:69]
	v_fma_f64 v[90:91], v[36:37], s[10:11], v[88:89]
	v_fma_f64 v[88:89], v[36:37], s[10:11], -v[88:89]
	s_delay_alu instid0(VALU_DEP_2) | instskip(SKIP_2) | instid1(VALU_DEP_2)
	v_add_f64_e32 v[70:71], v[90:91], v[70:71]
	v_fma_f64 v[90:91], v[26:27], s[28:29], -v[86:87]
	v_fma_f64 v[86:87], v[26:27], s[28:29], v[86:87]
	v_add_f64_e32 v[68:69], v[90:91], v[68:69]
	v_fma_f64 v[90:91], v[28:29], s[28:29], v[84:85]
	v_fma_f64 v[84:85], v[28:29], s[28:29], -v[84:85]
	s_delay_alu instid0(VALU_DEP_2) | instskip(SKIP_2) | instid1(VALU_DEP_2)
	v_add_f64_e32 v[70:71], v[90:91], v[70:71]
	v_fma_f64 v[90:91], v[34:35], s[26:27], -v[38:39]
	v_fma_f64 v[38:39], v[34:35], s[26:27], v[38:39]
	v_add_f64_e32 v[68:69], v[90:91], v[68:69]
	v_fma_f64 v[90:91], v[24:25], s[26:27], v[82:83]
	s_delay_alu instid0(VALU_DEP_1) | instskip(SKIP_1) | instid1(VALU_DEP_1)
	v_add_f64_e32 v[70:71], v[90:91], v[70:71]
	v_mul_f64_e32 v[90:91], s[48:49], v[46:47]
	v_fma_f64 v[46:47], v[42:43], s[6:7], -v[90:91]
	s_delay_alu instid0(VALU_DEP_1) | instskip(SKIP_1) | instid1(VALU_DEP_1)
	v_add_f64_e32 v[46:47], v[46:47], v[68:69]
	v_mul_f64_e32 v[68:69], s[6:7], v[44:45]
	v_fma_f64 v[44:45], v[32:33], s[48:49], v[68:69]
	v_fma_f64 v[68:69], v[32:33], s[54:55], v[68:69]
	s_delay_alu instid0(VALU_DEP_2) | instskip(SKIP_1) | instid1(VALU_DEP_2)
	v_add_f64_e32 v[44:45], v[44:45], v[70:71]
	v_mul_f64_e32 v[70:71], s[30:31], v[54:55]
	v_add_f64_e32 v[44:45], v[52:53], v[44:45]
	s_delay_alu instid0(VALU_DEP_2) | instskip(SKIP_2) | instid1(VALU_DEP_3)
	v_fma_f64 v[54:55], v[50:51], s[22:23], -v[70:71]
	v_fma_f64 v[52:53], v[58:59], s[34:35], -v[62:63]
	v_fma_f64 v[62:63], v[58:59], s[34:35], v[62:63]
	v_add_f64_e32 v[46:47], v[54:55], v[46:47]
	scratch_load_b64 v[54:55], off, off offset:116 th:TH_LOAD_LU ; 8-byte Folded Reload
	v_add_f64_e32 v[46:47], v[52:53], v[46:47]
	v_fma_f64 v[52:53], v[48:49], s[16:17], v[60:61]
	v_fma_f64 v[60:61], v[48:49], s[36:37], v[60:61]
	s_delay_alu instid0(VALU_DEP_2) | instskip(SKIP_1) | instid1(VALU_DEP_1)
	v_add_f64_e32 v[44:45], v[52:53], v[44:45]
	v_fma_f64 v[52:53], v[76:77], s[14:15], -v[78:79]
	v_add_f64_e32 v[46:47], v[52:53], v[46:47]
	v_fma_f64 v[52:53], v[56:57], s[40:41], v[80:81]
	s_delay_alu instid0(VALU_DEP_1)
	v_add_f64_e32 v[44:45], v[52:53], v[44:45]
	v_fma_f64 v[52:53], v[30:31], s[18:19], -v[122:123]
	scratch_load_b64 v[122:123], off, off offset:108 th:TH_LOAD_LU ; 8-byte Folded Reload
	s_wait_loadcnt 0x1
	v_add_f64_e32 v[52:53], v[52:53], v[54:55]
	v_fma_f64 v[54:55], v[36:37], s[18:19], v[125:126]
	v_fma_f64 v[125:126], v[56:57], s[42:43], v[167:168]
	s_wait_loadcnt 0x0
	s_delay_alu instid0(VALU_DEP_2) | instskip(SKIP_1) | instid1(VALU_DEP_1)
	v_add_f64_e32 v[54:55], v[54:55], v[122:123]
	v_fma_f64 v[122:123], v[26:27], s[34:35], -v[127:128]
	v_add_f64_e32 v[52:53], v[122:123], v[52:53]
	v_fma_f64 v[122:123], v[28:29], s[34:35], v[129:130]
	s_delay_alu instid0(VALU_DEP_1) | instskip(SKIP_1) | instid1(VALU_DEP_1)
	v_add_f64_e32 v[54:55], v[122:123], v[54:55]
	v_fma_f64 v[122:123], v[34:35], s[10:11], -v[139:140]
	v_add_f64_e32 v[52:53], v[122:123], v[52:53]
	v_fma_f64 v[122:123], v[24:25], s[10:11], v[141:142]
	s_delay_alu instid0(VALU_DEP_1) | instskip(SKIP_1) | instid1(VALU_DEP_1)
	;; [unrolled: 5-line block ×5, first 2 shown]
	v_add_f64_e32 v[122:123], v[122:123], v[54:55]
	v_fma_f64 v[54:55], v[76:77], s[26:27], -v[165:166]
	v_add_f64_e32 v[54:55], v[54:55], v[52:53]
	s_delay_alu instid0(VALU_DEP_3)
	v_add_f64_e32 v[52:53], v[125:126], v[122:123]
	scratch_load_b64 v[122:123], off, off offset:100 th:TH_LOAD_LU ; 8-byte Folded Reload
	s_wait_loadcnt 0x0
	v_add_f64_e32 v[14:15], v[14:15], v[122:123]
	scratch_load_b64 v[122:123], off, off offset:92 th:TH_LOAD_LU ; 8-byte Folded Reload
	v_add_f64_e32 v[14:15], v[86:87], v[14:15]
	s_delay_alu instid0(VALU_DEP_1) | instskip(SKIP_2) | instid1(VALU_DEP_1)
	v_add_f64_e32 v[14:15], v[38:39], v[14:15]
	v_fma_f64 v[38:39], v[24:25], s[26:27], -v[82:83]
	v_fma_f64 v[82:83], v[42:43], s[6:7], v[90:91]
	v_add_f64_e32 v[14:15], v[82:83], v[14:15]
	s_wait_loadcnt 0x0
	v_add_f64_e32 v[88:89], v[88:89], v[122:123]
	s_delay_alu instid0(VALU_DEP_1) | instskip(NEXT) | instid1(VALU_DEP_1)
	v_add_f64_e32 v[84:85], v[84:85], v[88:89]
	v_add_f64_e32 v[38:39], v[38:39], v[84:85]
	s_delay_alu instid0(VALU_DEP_1) | instskip(SKIP_1) | instid1(VALU_DEP_1)
	v_add_f64_e32 v[38:39], v[68:69], v[38:39]
	v_fma_f64 v[68:69], v[50:51], s[22:23], v[70:71]
	v_add_f64_e32 v[14:15], v[68:69], v[14:15]
	v_fma_f64 v[68:69], v[40:41], s[44:45], v[185:186]
	s_delay_alu instid0(VALU_DEP_2) | instskip(NEXT) | instid1(VALU_DEP_2)
	v_add_f64_e32 v[14:15], v[62:63], v[14:15]
	v_add_f64_e32 v[38:39], v[68:69], v[38:39]
	v_fma_f64 v[68:69], v[56:57], s[46:47], v[80:81]
	s_delay_alu instid0(VALU_DEP_2) | instskip(SKIP_1) | instid1(VALU_DEP_1)
	v_add_f64_e32 v[38:39], v[60:61], v[38:39]
	v_fma_f64 v[60:61], v[76:77], s[14:15], v[78:79]
	v_add_f64_e32 v[62:63], v[60:61], v[14:15]
	s_delay_alu instid0(VALU_DEP_3) | instskip(SKIP_3) | instid1(VALU_DEP_1)
	v_add_f64_e32 v[60:61], v[68:69], v[38:39]
	scratch_load_b64 v[38:39], off, off offset:84 th:TH_LOAD_LU ; 8-byte Folded Reload
	v_fma_f64 v[14:15], v[30:31], s[6:7], v[244:245]
	s_wait_loadcnt 0x0
	v_add_f64_e32 v[14:15], v[14:15], v[38:39]
	v_fma_f64 v[38:39], v[26:27], s[18:19], v[118:119]
	s_delay_alu instid0(VALU_DEP_1) | instskip(SKIP_3) | instid1(VALU_DEP_1)
	v_add_f64_e32 v[14:15], v[38:39], v[14:15]
	scratch_load_b64 v[38:39], off, off offset:76 th:TH_LOAD_LU ; 8-byte Folded Reload
	v_add_f64_e32 v[4:5], v[4:5], v[14:15]
	v_fma_f64 v[14:15], v[42:43], s[26:27], v[169:170]
	v_add_f64_e32 v[4:5], v[14:15], v[4:5]
	v_fma_f64 v[14:15], v[50:51], s[10:11], v[173:174]
	s_delay_alu instid0(VALU_DEP_1) | instskip(SKIP_2) | instid1(VALU_DEP_1)
	v_add_f64_e32 v[4:5], v[14:15], v[4:5]
	v_fma_f64 v[14:15], v[36:37], s[6:7], -v[151:152]
	s_wait_loadcnt 0x0
	v_add_f64_e32 v[14:15], v[14:15], v[38:39]
	s_delay_alu instid0(VALU_DEP_1) | instskip(SKIP_4) | instid1(VALU_DEP_1)
	v_add_f64_e32 v[0:1], v[0:1], v[14:15]
	v_fma_f64 v[14:15], v[56:57], s[38:39], v[18:19]
	scratch_load_b64 v[18:19], off, off offset:36 th:TH_LOAD_LU ; 8-byte Folded Reload
	v_add_f64_e32 v[0:1], v[8:9], v[0:1]
	v_fma_f64 v[8:9], v[32:33], s[42:43], v[64:65]
	v_add_f64_e32 v[0:1], v[8:9], v[0:1]
	v_fma_f64 v[8:9], v[40:41], s[56:57], v[22:23]
	s_delay_alu instid0(VALU_DEP_1) | instskip(SKIP_1) | instid1(VALU_DEP_1)
	v_add_f64_e32 v[0:1], v[8:9], v[0:1]
	v_fma_f64 v[8:9], v[58:59], s[14:15], v[177:178]
	v_add_f64_e32 v[4:5], v[8:9], v[4:5]
	v_fma_f64 v[8:9], v[48:49], s[40:41], v[181:182]
	s_delay_alu instid0(VALU_DEP_1) | instskip(SKIP_1) | instid1(VALU_DEP_2)
	v_add_f64_e32 v[0:1], v[8:9], v[0:1]
	v_fma_f64 v[8:9], v[76:77], s[28:29], v[116:117]
	v_add_f64_e32 v[78:79], v[14:15], v[0:1]
	s_delay_alu instid0(VALU_DEP_2) | instskip(SKIP_4) | instid1(VALU_DEP_3)
	v_add_f64_e32 v[80:81], v[8:9], v[4:5]
	scratch_load_b64 v[8:9], off, off offset:68 th:TH_LOAD_LU ; 8-byte Folded Reload
	v_fma_f64 v[0:1], v[30:31], s[14:15], v[226:227]
	v_fma_f64 v[4:5], v[36:37], s[14:15], -v[228:229]
	v_fma_f64 v[14:15], v[56:57], s[56:57], v[253:254]
	v_add_f64_e32 v[0:1], v[0:1], v[137:138]
	s_wait_loadcnt 0x0
	s_delay_alu instid0(VALU_DEP_3) | instskip(SKIP_1) | instid1(VALU_DEP_1)
	v_add_f64_e32 v[4:5], v[4:5], v[8:9]
	v_fma_f64 v[8:9], v[26:27], s[6:7], v[135:136]
	v_add_f64_e32 v[0:1], v[8:9], v[0:1]
	v_fma_f64 v[8:9], v[28:29], s[6:7], -v[230:231]
	s_delay_alu instid0(VALU_DEP_1) | instskip(SKIP_1) | instid1(VALU_DEP_1)
	v_add_f64_e32 v[4:5], v[8:9], v[4:5]
	v_fma_f64 v[8:9], v[34:35], s[18:19], v[232:233]
	v_add_f64_e32 v[0:1], v[8:9], v[0:1]
	v_fma_f64 v[8:9], v[24:25], s[18:19], -v[234:235]
	s_delay_alu instid0(VALU_DEP_1) | instskip(SKIP_1) | instid1(VALU_DEP_1)
	v_add_f64_e32 v[4:5], v[8:9], v[4:5]
	v_fma_f64 v[8:9], v[42:43], s[28:29], v[236:237]
	v_add_f64_e32 v[0:1], v[8:9], v[0:1]
	v_fma_f64 v[8:9], v[32:33], s[38:39], v[238:239]
	s_delay_alu instid0(VALU_DEP_1) | instskip(SKIP_1) | instid1(VALU_DEP_1)
	v_add_f64_e32 v[4:5], v[8:9], v[4:5]
	v_fma_f64 v[8:9], v[50:51], s[34:35], v[240:241]
	v_add_f64_e32 v[0:1], v[8:9], v[0:1]
	v_fma_f64 v[8:9], v[40:41], s[36:37], v[242:243]
	;; [unrolled: 5-line block ×3, first 2 shown]
	s_delay_alu instid0(VALU_DEP_1) | instskip(SKIP_1) | instid1(VALU_DEP_2)
	v_add_f64_e32 v[4:5], v[8:9], v[4:5]
	v_fma_f64 v[8:9], v[76:77], s[10:11], v[251:252]
	v_add_f64_e32 v[82:83], v[14:15], v[4:5]
	scratch_load_b64 v[4:5], off, off offset:60 th:TH_LOAD_LU ; 8-byte Folded Reload
	v_add_f64_e32 v[84:85], v[8:9], v[0:1]
	scratch_load_b64 v[8:9], off, off offset:52 th:TH_LOAD_LU ; 8-byte Folded Reload
	v_fma_f64 v[0:1], v[30:31], s[22:23], v[198:199]
	v_fma_f64 v[14:15], v[56:57], s[16:17], v[224:225]
	s_wait_loadcnt 0x1
	s_delay_alu instid0(VALU_DEP_2) | instskip(SKIP_2) | instid1(VALU_DEP_1)
	v_add_f64_e32 v[0:1], v[0:1], v[4:5]
	v_fma_f64 v[4:5], v[36:37], s[22:23], -v[200:201]
	s_wait_loadcnt 0x0
	v_add_f64_e32 v[4:5], v[4:5], v[8:9]
	v_fma_f64 v[8:9], v[26:27], s[14:15], v[202:203]
	s_delay_alu instid0(VALU_DEP_1) | instskip(SKIP_1) | instid1(VALU_DEP_1)
	v_add_f64_e32 v[0:1], v[8:9], v[0:1]
	v_fma_f64 v[8:9], v[28:29], s[14:15], -v[204:205]
	v_add_f64_e32 v[4:5], v[8:9], v[4:5]
	v_fma_f64 v[8:9], v[34:35], s[6:7], v[206:207]
	s_delay_alu instid0(VALU_DEP_1) | instskip(SKIP_1) | instid1(VALU_DEP_1)
	v_add_f64_e32 v[0:1], v[8:9], v[0:1]
	v_fma_f64 v[8:9], v[24:25], s[6:7], -v[208:209]
	v_add_f64_e32 v[4:5], v[8:9], v[4:5]
	v_fma_f64 v[8:9], v[42:43], s[10:11], v[210:211]
	s_delay_alu instid0(VALU_DEP_1) | instskip(SKIP_1) | instid1(VALU_DEP_1)
	v_add_f64_e32 v[0:1], v[8:9], v[0:1]
	v_fma_f64 v[8:9], v[32:33], s[24:25], v[212:213]
	v_add_f64_e32 v[4:5], v[8:9], v[4:5]
	v_fma_f64 v[8:9], v[50:51], s[18:19], v[214:215]
	s_delay_alu instid0(VALU_DEP_1) | instskip(SKIP_1) | instid1(VALU_DEP_1)
	v_add_f64_e32 v[0:1], v[8:9], v[0:1]
	v_fma_f64 v[8:9], v[40:41], s[8:9], v[216:217]
	;; [unrolled: 5-line block ×3, first 2 shown]
	v_add_f64_e32 v[4:5], v[8:9], v[4:5]
	v_fma_f64 v[8:9], v[76:77], s[34:35], v[222:223]
	s_delay_alu instid0(VALU_DEP_2)
	v_add_f64_e32 v[68:69], v[14:15], v[4:5]
	scratch_load_b64 v[14:15], off, off offset:44 th:TH_LOAD_LU ; 8-byte Folded Reload
	v_add_f64_e32 v[70:71], v[8:9], v[0:1]
	v_fma_f64 v[0:1], v[30:31], s[28:29], v[120:121]
	v_fma_f64 v[4:5], v[36:37], s[28:29], -v[114:115]
	v_fma_f64 v[8:9], v[26:27], s[26:27], v[66:67]
	s_delay_alu instid0(VALU_DEP_2) | instskip(SKIP_4) | instid1(VALU_DEP_2)
	v_add_f64_e32 v[4:5], v[4:5], v[18:19]
	v_fma_f64 v[18:19], v[34:35], s[22:23], v[171:172]
	s_wait_loadcnt 0x0
	v_add_f64_e32 v[0:1], v[0:1], v[14:15]
	v_fma_f64 v[14:15], v[28:29], s[26:27], -v[20:21]
	v_add_f64_e32 v[0:1], v[8:9], v[0:1]
	v_fma_f64 v[8:9], v[24:25], s[22:23], -v[16:17]
	s_delay_alu instid0(VALU_DEP_3) | instskip(SKIP_1) | instid1(VALU_DEP_4)
	v_add_f64_e32 v[4:5], v[14:15], v[4:5]
	v_fma_f64 v[14:15], v[42:43], s[18:19], v[175:176]
	v_add_f64_e32 v[0:1], v[18:19], v[0:1]
	s_delay_alu instid0(VALU_DEP_3) | instskip(SKIP_1) | instid1(VALU_DEP_3)
	v_add_f64_e32 v[4:5], v[8:9], v[4:5]
	v_fma_f64 v[8:9], v[50:51], s[14:15], v[179:180]
	v_add_f64_e32 v[0:1], v[14:15], v[0:1]
	s_delay_alu instid0(VALU_DEP_3) | instskip(SKIP_1) | instid1(VALU_DEP_3)
	v_add_f64_e32 v[4:5], v[12:13], v[4:5]
	v_fma_f64 v[12:13], v[58:59], s[10:11], v[183:184]
	v_add_f64_e32 v[0:1], v[8:9], v[0:1]
	v_fma_f64 v[8:9], v[76:77], s[6:7], v[187:188]
	s_delay_alu instid0(VALU_DEP_4) | instskip(NEXT) | instid1(VALU_DEP_3)
	v_add_f64_e32 v[4:5], v[10:11], v[4:5]
	v_add_f64_e32 v[0:1], v[12:13], v[0:1]
	s_delay_alu instid0(VALU_DEP_2) | instskip(NEXT) | instid1(VALU_DEP_2)
	v_add_f64_e32 v[4:5], v[6:7], v[4:5]
	v_add_f64_e32 v[26:27], v[8:9], v[0:1]
	scratch_load_b32 v1, off, off offset:4 th:TH_LOAD_LU ; 4-byte Folded Reload
	v_mul_lo_u16 v0, v255, 17
	v_add_f64_e32 v[24:25], v[2:3], v[4:5]
	s_delay_alu instid0(VALU_DEP_2) | instskip(SKIP_1) | instid1(VALU_DEP_1)
	v_dual_mov_b32 v245, v197 :: v_dual_and_b32 v0, 0xffff, v0
	s_wait_loadcnt 0x0
	v_lshl_add_u32 v0, v0, 4, v1
	scratch_load_b128 v[1:4], off, off offset:20 th:TH_LOAD_LU ; 16-byte Folded Reload
	s_wait_loadcnt 0x0
	ds_store_b128 v0, v[1:4]
	ds_store_b128 v0, v[98:101] offset:16
	ds_store_b128 v0, v[102:105] offset:32
	;; [unrolled: 1-line block ×16, first 2 shown]
.LBB0_13:
	s_or_b32 exec_lo, exec_lo, s33
	global_wb scope:SCOPE_SE
	s_wait_storecnt_dscnt 0x0
	s_barrier_signal -1
	s_barrier_wait -1
	global_inv scope:SCOPE_SE
	ds_load_b128 v[0:3], v92 offset:272
	ds_load_b128 v[12:15], v92 offset:544
	s_mov_b32 s6, 0xe8584caa
	s_mov_b32 s7, 0xbfebb67a
	;; [unrolled: 1-line block ×3, first 2 shown]
	s_wait_alu 0xfffe
	s_mov_b32 s8, s6
	s_wait_dscnt 0x1
	v_mul_f64_e32 v[4:5], v[191:192], v[2:3]
	s_wait_dscnt 0x0
	v_mul_f64_e32 v[6:7], v[195:196], v[14:15]
	v_mul_f64_e32 v[8:9], v[191:192], v[0:1]
	;; [unrolled: 1-line block ×3, first 2 shown]
	s_delay_alu instid0(VALU_DEP_4) | instskip(NEXT) | instid1(VALU_DEP_4)
	v_fma_f64 v[4:5], v[189:190], v[0:1], v[4:5]
	v_fma_f64 v[6:7], v[193:194], v[12:13], v[6:7]
	s_delay_alu instid0(VALU_DEP_4) | instskip(NEXT) | instid1(VALU_DEP_4)
	v_fma_f64 v[8:9], v[189:190], v[2:3], -v[8:9]
	v_fma_f64 v[10:11], v[193:194], v[14:15], -v[10:11]
	ds_load_b128 v[0:3], v92
	s_wait_dscnt 0x0
	v_add_f64_e32 v[16:17], v[0:1], v[4:5]
	v_add_f64_e32 v[12:13], v[4:5], v[6:7]
	v_add_f64_e64 v[20:21], v[4:5], -v[6:7]
	v_add_f64_e32 v[14:15], v[8:9], v[10:11]
	v_add_f64_e64 v[18:19], v[8:9], -v[10:11]
	v_add_f64_e32 v[8:9], v[2:3], v[8:9]
	v_fma_f64 v[12:13], v[12:13], -0.5, v[0:1]
	v_add_f64_e32 v[0:1], v[16:17], v[6:7]
	v_fma_f64 v[14:15], v[14:15], -0.5, v[2:3]
	s_delay_alu instid0(VALU_DEP_4) | instskip(NEXT) | instid1(VALU_DEP_4)
	v_add_f64_e32 v[2:3], v[8:9], v[10:11]
	v_fma_f64 v[4:5], v[18:19], s[6:7], v[12:13]
	s_wait_alu 0xfffe
	v_fma_f64 v[8:9], v[18:19], s[8:9], v[12:13]
	s_delay_alu instid0(VALU_DEP_4)
	v_fma_f64 v[6:7], v[20:21], s[8:9], v[14:15]
	v_fma_f64 v[10:11], v[20:21], s[6:7], v[14:15]
	ds_store_b128 v93, v[0:3]
	ds_store_b128 v93, v[4:7] offset:272
	ds_store_b128 v93, v[8:11] offset:544
	global_wb scope:SCOPE_SE
	s_wait_dscnt 0x0
	s_barrier_signal -1
	s_barrier_wait -1
	global_inv scope:SCOPE_SE
	s_and_b32 exec_lo, exec_lo, vcc_lo
	s_cbranch_execz .LBB0_15
; %bb.14:
	scratch_load_b32 v0, off, off th:TH_LOAD_LU ; 4-byte Folded Reload
	global_load_b128 v[3:6], v246, s[4:5]
	ds_load_b128 v[7:10], v93
	s_mov_b32 s6, 0x14141414
	s_mov_b32 s7, 0x3f941414
	s_mul_u64 s[8:9], s[0:1], 0x60
	s_wait_loadcnt 0x1
	v_lshl_add_u32 v2, v0, 4, v246
	ds_load_b128 v[11:14], v2 offset:48
	s_wait_loadcnt_dscnt 0x1
	v_mul_f64_e32 v[0:1], v[9:10], v[5:6]
	v_mul_f64_e32 v[5:6], v[7:8], v[5:6]
	s_delay_alu instid0(VALU_DEP_2) | instskip(NEXT) | instid1(VALU_DEP_2)
	v_fma_f64 v[0:1], v[7:8], v[3:4], v[0:1]
	v_fma_f64 v[5:6], v[3:4], v[9:10], -v[5:6]
	v_mad_co_u64_u32 v[7:8], null, s2, v124, 0
	v_mad_co_u64_u32 v[9:10], null, s0, v255, 0
	s_wait_alu 0xfffe
	s_delay_alu instid0(VALU_DEP_4) | instskip(NEXT) | instid1(VALU_DEP_4)
	v_mul_f64_e32 v[3:4], s[6:7], v[0:1]
	v_mul_f64_e32 v[5:6], s[6:7], v[5:6]
	s_delay_alu instid0(VALU_DEP_3) | instskip(NEXT) | instid1(VALU_DEP_1)
	v_dual_mov_b32 v0, v8 :: v_dual_mov_b32 v1, v10
	v_mad_co_u64_u32 v[15:16], null, s3, v124, v[0:1]
	v_mad_co_u64_u32 v[0:1], null, s1, v255, v[1:2]
	s_mul_u64 s[2:3], s[0:1], 48
	s_delay_alu instid0(VALU_DEP_2) | instskip(NEXT) | instid1(VALU_DEP_2)
	v_mov_b32_e32 v8, v15
	v_mov_b32_e32 v10, v0
	s_delay_alu instid0(VALU_DEP_2) | instskip(NEXT) | instid1(VALU_DEP_2)
	v_lshlrev_b64_e32 v[0:1], 4, v[7:8]
	v_lshlrev_b64_e32 v[7:8], 4, v[9:10]
	s_delay_alu instid0(VALU_DEP_2) | instskip(NEXT) | instid1(VALU_DEP_3)
	v_add_co_u32 v0, vcc_lo, s12, v0
	v_add_co_ci_u32_e32 v1, vcc_lo, s13, v1, vcc_lo
	s_delay_alu instid0(VALU_DEP_2) | instskip(SKIP_1) | instid1(VALU_DEP_2)
	v_add_co_u32 v7, vcc_lo, v0, v7
	s_wait_alu 0xfffd
	v_add_co_ci_u32_e32 v8, vcc_lo, v1, v8, vcc_lo
	s_wait_alu 0xfffe
	s_delay_alu instid0(VALU_DEP_2)
	v_add_co_u32 v15, vcc_lo, v7, s2
	global_store_b128 v[7:8], v[3:6], off
	global_load_b128 v[3:6], v246, s[4:5] offset:48
	s_wait_alu 0xfffd
	v_add_co_ci_u32_e32 v16, vcc_lo, s3, v8, vcc_lo
	s_wait_loadcnt_dscnt 0x0
	v_mul_f64_e32 v[9:10], v[13:14], v[5:6]
	v_mul_f64_e32 v[5:6], v[11:12], v[5:6]
	s_delay_alu instid0(VALU_DEP_2) | instskip(NEXT) | instid1(VALU_DEP_2)
	v_fma_f64 v[9:10], v[11:12], v[3:4], v[9:10]
	v_fma_f64 v[5:6], v[3:4], v[13:14], -v[5:6]
	s_delay_alu instid0(VALU_DEP_2) | instskip(NEXT) | instid1(VALU_DEP_2)
	v_mul_f64_e32 v[3:4], s[6:7], v[9:10]
	v_mul_f64_e32 v[5:6], s[6:7], v[5:6]
	global_store_b128 v[15:16], v[3:6], off
	global_load_b128 v[3:6], v246, s[4:5] offset:96
	ds_load_b128 v[7:10], v2 offset:96
	ds_load_b128 v[11:14], v2 offset:144
	s_wait_loadcnt_dscnt 0x1
	v_mul_f64_e32 v[17:18], v[9:10], v[5:6]
	v_mul_f64_e32 v[5:6], v[7:8], v[5:6]
	s_delay_alu instid0(VALU_DEP_2) | instskip(NEXT) | instid1(VALU_DEP_2)
	v_fma_f64 v[7:8], v[7:8], v[3:4], v[17:18]
	v_fma_f64 v[5:6], v[3:4], v[9:10], -v[5:6]
	s_delay_alu instid0(VALU_DEP_2) | instskip(NEXT) | instid1(VALU_DEP_2)
	v_mul_f64_e32 v[3:4], s[6:7], v[7:8]
	v_mul_f64_e32 v[5:6], s[6:7], v[5:6]
	v_add_co_u32 v7, vcc_lo, v15, s2
	s_wait_alu 0xfffd
	v_add_co_ci_u32_e32 v8, vcc_lo, s3, v16, vcc_lo
	s_delay_alu instid0(VALU_DEP_2) | instskip(SKIP_1) | instid1(VALU_DEP_2)
	v_add_co_u32 v15, vcc_lo, v7, s2
	s_wait_alu 0xfffd
	v_add_co_ci_u32_e32 v16, vcc_lo, s3, v8, vcc_lo
	global_store_b128 v[7:8], v[3:6], off
	global_load_b128 v[3:6], v246, s[4:5] offset:144
	s_wait_loadcnt_dscnt 0x0
	v_mul_f64_e32 v[9:10], v[13:14], v[5:6]
	v_mul_f64_e32 v[5:6], v[11:12], v[5:6]
	s_delay_alu instid0(VALU_DEP_2) | instskip(NEXT) | instid1(VALU_DEP_2)
	v_fma_f64 v[9:10], v[11:12], v[3:4], v[9:10]
	v_fma_f64 v[5:6], v[3:4], v[13:14], -v[5:6]
	s_delay_alu instid0(VALU_DEP_2) | instskip(NEXT) | instid1(VALU_DEP_2)
	v_mul_f64_e32 v[3:4], s[6:7], v[9:10]
	v_mul_f64_e32 v[5:6], s[6:7], v[5:6]
	global_store_b128 v[15:16], v[3:6], off
	global_load_b128 v[3:6], v246, s[4:5] offset:192
	ds_load_b128 v[7:10], v2 offset:192
	ds_load_b128 v[11:14], v2 offset:240
	s_wait_loadcnt_dscnt 0x1
	v_mul_f64_e32 v[17:18], v[9:10], v[5:6]
	v_mul_f64_e32 v[5:6], v[7:8], v[5:6]
	s_delay_alu instid0(VALU_DEP_2) | instskip(SKIP_3) | instid1(VALU_DEP_2)
	v_fma_f64 v[7:8], v[7:8], v[3:4], v[17:18]
	scratch_load_b32 v17, off, off offset:16 th:TH_LOAD_LU ; 4-byte Folded Reload
	v_fma_f64 v[5:6], v[3:4], v[9:10], -v[5:6]
	v_mul_f64_e32 v[3:4], s[6:7], v[7:8]
	v_mul_f64_e32 v[5:6], s[6:7], v[5:6]
	s_wait_loadcnt 0x0
	v_mad_co_u64_u32 v[9:10], null, s0, v17, 0
	s_delay_alu instid0(VALU_DEP_1) | instskip(NEXT) | instid1(VALU_DEP_1)
	v_mov_b32_e32 v7, v10
	v_mad_co_u64_u32 v[7:8], null, s1, v17, v[7:8]
	s_delay_alu instid0(VALU_DEP_1) | instskip(NEXT) | instid1(VALU_DEP_1)
	v_mov_b32_e32 v10, v7
	v_lshlrev_b64_e32 v[7:8], 4, v[9:10]
	s_delay_alu instid0(VALU_DEP_1) | instskip(SKIP_1) | instid1(VALU_DEP_2)
	v_add_co_u32 v7, vcc_lo, v0, v7
	s_wait_alu 0xfffd
	v_add_co_ci_u32_e32 v8, vcc_lo, v1, v8, vcc_lo
	v_add_co_u32 v15, vcc_lo, v15, s8
	s_wait_alu 0xfffd
	v_add_co_ci_u32_e32 v16, vcc_lo, s9, v16, vcc_lo
	global_store_b128 v[7:8], v[3:6], off
	global_load_b128 v[3:6], v246, s[4:5] offset:240
	s_wait_loadcnt_dscnt 0x0
	v_mul_f64_e32 v[7:8], v[13:14], v[5:6]
	v_mul_f64_e32 v[5:6], v[11:12], v[5:6]
	s_delay_alu instid0(VALU_DEP_2) | instskip(NEXT) | instid1(VALU_DEP_2)
	v_fma_f64 v[7:8], v[11:12], v[3:4], v[7:8]
	v_fma_f64 v[5:6], v[3:4], v[13:14], -v[5:6]
	s_delay_alu instid0(VALU_DEP_2) | instskip(NEXT) | instid1(VALU_DEP_2)
	v_mul_f64_e32 v[3:4], s[6:7], v[7:8]
	v_mul_f64_e32 v[5:6], s[6:7], v[5:6]
	global_store_b128 v[15:16], v[3:6], off
	global_load_b128 v[3:6], v246, s[4:5] offset:288
	ds_load_b128 v[7:10], v2 offset:288
	ds_load_b128 v[11:14], v2 offset:336
	s_wait_loadcnt_dscnt 0x1
	v_mul_f64_e32 v[17:18], v[9:10], v[5:6]
	v_mul_f64_e32 v[5:6], v[7:8], v[5:6]
	s_delay_alu instid0(VALU_DEP_2) | instskip(NEXT) | instid1(VALU_DEP_2)
	v_fma_f64 v[7:8], v[7:8], v[3:4], v[17:18]
	v_fma_f64 v[5:6], v[3:4], v[9:10], -v[5:6]
	s_delay_alu instid0(VALU_DEP_2) | instskip(NEXT) | instid1(VALU_DEP_2)
	v_mul_f64_e32 v[3:4], s[6:7], v[7:8]
	v_mul_f64_e32 v[5:6], s[6:7], v[5:6]
	v_add_co_u32 v7, vcc_lo, v15, s2
	s_wait_alu 0xfffd
	v_add_co_ci_u32_e32 v8, vcc_lo, s3, v16, vcc_lo
	s_delay_alu instid0(VALU_DEP_2) | instskip(SKIP_1) | instid1(VALU_DEP_2)
	v_add_co_u32 v15, vcc_lo, v7, s2
	s_wait_alu 0xfffd
	v_add_co_ci_u32_e32 v16, vcc_lo, s3, v8, vcc_lo
	global_store_b128 v[7:8], v[3:6], off
	global_load_b128 v[3:6], v246, s[4:5] offset:336
	s_wait_loadcnt_dscnt 0x0
	v_mul_f64_e32 v[9:10], v[13:14], v[5:6]
	v_mul_f64_e32 v[5:6], v[11:12], v[5:6]
	s_delay_alu instid0(VALU_DEP_2) | instskip(NEXT) | instid1(VALU_DEP_2)
	v_fma_f64 v[9:10], v[11:12], v[3:4], v[9:10]
	v_fma_f64 v[5:6], v[3:4], v[13:14], -v[5:6]
	s_delay_alu instid0(VALU_DEP_2) | instskip(NEXT) | instid1(VALU_DEP_2)
	v_mul_f64_e32 v[3:4], s[6:7], v[9:10]
	v_mul_f64_e32 v[5:6], s[6:7], v[5:6]
	global_store_b128 v[15:16], v[3:6], off
	global_load_b128 v[3:6], v246, s[4:5] offset:384
	ds_load_b128 v[7:10], v2 offset:384
	ds_load_b128 v[11:14], v2 offset:432
	s_wait_loadcnt_dscnt 0x1
	v_mul_f64_e32 v[17:18], v[9:10], v[5:6]
	v_mul_f64_e32 v[5:6], v[7:8], v[5:6]
	s_delay_alu instid0(VALU_DEP_2) | instskip(SKIP_3) | instid1(VALU_DEP_2)
	v_fma_f64 v[7:8], v[7:8], v[3:4], v[17:18]
	scratch_load_b32 v17, off, off offset:12 th:TH_LOAD_LU ; 4-byte Folded Reload
	v_fma_f64 v[5:6], v[3:4], v[9:10], -v[5:6]
	v_mul_f64_e32 v[3:4], s[6:7], v[7:8]
	v_mul_f64_e32 v[5:6], s[6:7], v[5:6]
	s_wait_loadcnt 0x0
	v_mad_co_u64_u32 v[9:10], null, s0, v17, 0
	s_delay_alu instid0(VALU_DEP_1) | instskip(NEXT) | instid1(VALU_DEP_1)
	v_mov_b32_e32 v7, v10
	v_mad_co_u64_u32 v[7:8], null, s1, v17, v[7:8]
	s_delay_alu instid0(VALU_DEP_1) | instskip(NEXT) | instid1(VALU_DEP_1)
	v_mov_b32_e32 v10, v7
	v_lshlrev_b64_e32 v[7:8], 4, v[9:10]
	s_delay_alu instid0(VALU_DEP_1) | instskip(SKIP_1) | instid1(VALU_DEP_2)
	v_add_co_u32 v7, vcc_lo, v0, v7
	s_wait_alu 0xfffd
	v_add_co_ci_u32_e32 v8, vcc_lo, v1, v8, vcc_lo
	v_add_co_u32 v15, vcc_lo, v15, s8
	s_wait_alu 0xfffd
	v_add_co_ci_u32_e32 v16, vcc_lo, s9, v16, vcc_lo
	global_store_b128 v[7:8], v[3:6], off
	global_load_b128 v[3:6], v246, s[4:5] offset:432
	s_wait_loadcnt_dscnt 0x0
	v_mul_f64_e32 v[7:8], v[13:14], v[5:6]
	v_mul_f64_e32 v[5:6], v[11:12], v[5:6]
	s_delay_alu instid0(VALU_DEP_2) | instskip(NEXT) | instid1(VALU_DEP_2)
	v_fma_f64 v[7:8], v[11:12], v[3:4], v[7:8]
	v_fma_f64 v[5:6], v[3:4], v[13:14], -v[5:6]
	s_delay_alu instid0(VALU_DEP_2) | instskip(NEXT) | instid1(VALU_DEP_2)
	v_mul_f64_e32 v[3:4], s[6:7], v[7:8]
	v_mul_f64_e32 v[5:6], s[6:7], v[5:6]
	global_store_b128 v[15:16], v[3:6], off
	global_load_b128 v[3:6], v246, s[4:5] offset:480
	ds_load_b128 v[7:10], v2 offset:480
	ds_load_b128 v[11:14], v2 offset:528
	s_wait_loadcnt_dscnt 0x1
	v_mul_f64_e32 v[17:18], v[9:10], v[5:6]
	v_mul_f64_e32 v[5:6], v[7:8], v[5:6]
	s_delay_alu instid0(VALU_DEP_2) | instskip(NEXT) | instid1(VALU_DEP_2)
	v_fma_f64 v[7:8], v[7:8], v[3:4], v[17:18]
	v_fma_f64 v[5:6], v[3:4], v[9:10], -v[5:6]
	s_delay_alu instid0(VALU_DEP_2) | instskip(NEXT) | instid1(VALU_DEP_2)
	v_mul_f64_e32 v[3:4], s[6:7], v[7:8]
	v_mul_f64_e32 v[5:6], s[6:7], v[5:6]
	v_add_co_u32 v7, vcc_lo, v15, s2
	s_wait_alu 0xfffd
	v_add_co_ci_u32_e32 v8, vcc_lo, s3, v16, vcc_lo
	s_delay_alu instid0(VALU_DEP_2) | instskip(SKIP_1) | instid1(VALU_DEP_2)
	v_add_co_u32 v15, vcc_lo, v7, s2
	s_wait_alu 0xfffd
	v_add_co_ci_u32_e32 v16, vcc_lo, s3, v8, vcc_lo
	global_store_b128 v[7:8], v[3:6], off
	global_load_b128 v[3:6], v246, s[4:5] offset:528
	s_wait_loadcnt_dscnt 0x0
	v_mul_f64_e32 v[9:10], v[13:14], v[5:6]
	v_mul_f64_e32 v[5:6], v[11:12], v[5:6]
	s_delay_alu instid0(VALU_DEP_2) | instskip(NEXT) | instid1(VALU_DEP_2)
	v_fma_f64 v[9:10], v[11:12], v[3:4], v[9:10]
	v_fma_f64 v[5:6], v[3:4], v[13:14], -v[5:6]
	s_delay_alu instid0(VALU_DEP_2) | instskip(NEXT) | instid1(VALU_DEP_2)
	v_mul_f64_e32 v[3:4], s[6:7], v[9:10]
	v_mul_f64_e32 v[5:6], s[6:7], v[5:6]
	global_store_b128 v[15:16], v[3:6], off
	global_load_b128 v[3:6], v246, s[4:5] offset:576
	ds_load_b128 v[7:10], v2 offset:576
	ds_load_b128 v[11:14], v2 offset:624
	s_wait_loadcnt_dscnt 0x1
	v_mul_f64_e32 v[17:18], v[9:10], v[5:6]
	v_mul_f64_e32 v[5:6], v[7:8], v[5:6]
	s_delay_alu instid0(VALU_DEP_2) | instskip(SKIP_3) | instid1(VALU_DEP_2)
	v_fma_f64 v[7:8], v[7:8], v[3:4], v[17:18]
	scratch_load_b32 v17, off, off offset:8 th:TH_LOAD_LU ; 4-byte Folded Reload
	v_fma_f64 v[5:6], v[3:4], v[9:10], -v[5:6]
	v_mul_f64_e32 v[3:4], s[6:7], v[7:8]
	v_mul_f64_e32 v[5:6], s[6:7], v[5:6]
	s_wait_loadcnt 0x0
	v_mad_co_u64_u32 v[9:10], null, s0, v17, 0
	s_delay_alu instid0(VALU_DEP_1) | instskip(NEXT) | instid1(VALU_DEP_1)
	v_mov_b32_e32 v7, v10
	v_mad_co_u64_u32 v[7:8], null, s1, v17, v[7:8]
	s_delay_alu instid0(VALU_DEP_1) | instskip(NEXT) | instid1(VALU_DEP_1)
	v_mov_b32_e32 v10, v7
	v_lshlrev_b64_e32 v[7:8], 4, v[9:10]
	s_delay_alu instid0(VALU_DEP_1) | instskip(SKIP_1) | instid1(VALU_DEP_2)
	v_add_co_u32 v7, vcc_lo, v0, v7
	s_wait_alu 0xfffd
	v_add_co_ci_u32_e32 v8, vcc_lo, v1, v8, vcc_lo
	v_add_co_u32 v15, vcc_lo, v15, s8
	s_wait_alu 0xfffd
	v_add_co_ci_u32_e32 v16, vcc_lo, s9, v16, vcc_lo
	global_store_b128 v[7:8], v[3:6], off
	global_load_b128 v[3:6], v246, s[4:5] offset:624
	s_wait_loadcnt_dscnt 0x0
	v_mul_f64_e32 v[7:8], v[13:14], v[5:6]
	v_mul_f64_e32 v[5:6], v[11:12], v[5:6]
	s_delay_alu instid0(VALU_DEP_2) | instskip(NEXT) | instid1(VALU_DEP_2)
	v_fma_f64 v[7:8], v[11:12], v[3:4], v[7:8]
	v_fma_f64 v[5:6], v[3:4], v[13:14], -v[5:6]
	s_delay_alu instid0(VALU_DEP_2) | instskip(NEXT) | instid1(VALU_DEP_2)
	v_mul_f64_e32 v[3:4], s[6:7], v[7:8]
	v_mul_f64_e32 v[5:6], s[6:7], v[5:6]
	global_store_b128 v[15:16], v[3:6], off
	global_load_b128 v[3:6], v246, s[4:5] offset:672
	ds_load_b128 v[7:10], v2 offset:672
	ds_load_b128 v[11:14], v2 offset:720
	s_wait_loadcnt_dscnt 0x1
	v_mul_f64_e32 v[17:18], v[9:10], v[5:6]
	v_mul_f64_e32 v[5:6], v[7:8], v[5:6]
	s_delay_alu instid0(VALU_DEP_2) | instskip(NEXT) | instid1(VALU_DEP_2)
	v_fma_f64 v[7:8], v[7:8], v[3:4], v[17:18]
	v_fma_f64 v[5:6], v[3:4], v[9:10], -v[5:6]
	s_delay_alu instid0(VALU_DEP_2) | instskip(NEXT) | instid1(VALU_DEP_2)
	v_mul_f64_e32 v[3:4], s[6:7], v[7:8]
	v_mul_f64_e32 v[5:6], s[6:7], v[5:6]
	v_add_co_u32 v7, vcc_lo, v15, s2
	s_wait_alu 0xfffd
	v_add_co_ci_u32_e32 v8, vcc_lo, s3, v16, vcc_lo
	global_store_b128 v[7:8], v[3:6], off
	global_load_b128 v[3:6], v246, s[4:5] offset:720
	v_add_co_u32 v7, vcc_lo, v7, s2
	s_wait_alu 0xfffd
	v_add_co_ci_u32_e32 v8, vcc_lo, s3, v8, vcc_lo
	s_wait_loadcnt_dscnt 0x0
	v_mul_f64_e32 v[9:10], v[13:14], v[5:6]
	v_mul_f64_e32 v[5:6], v[11:12], v[5:6]
	s_delay_alu instid0(VALU_DEP_2) | instskip(NEXT) | instid1(VALU_DEP_2)
	v_fma_f64 v[9:10], v[11:12], v[3:4], v[9:10]
	v_fma_f64 v[5:6], v[3:4], v[13:14], -v[5:6]
	s_delay_alu instid0(VALU_DEP_2) | instskip(NEXT) | instid1(VALU_DEP_2)
	v_mul_f64_e32 v[3:4], s[6:7], v[9:10]
	v_mul_f64_e32 v[5:6], s[6:7], v[5:6]
	global_store_b128 v[7:8], v[3:6], off
	global_load_b128 v[3:6], v246, s[4:5] offset:768
	ds_load_b128 v[7:10], v2 offset:768
	s_wait_loadcnt_dscnt 0x0
	v_mul_f64_e32 v[11:12], v[9:10], v[5:6]
	v_mul_f64_e32 v[5:6], v[7:8], v[5:6]
	s_delay_alu instid0(VALU_DEP_2) | instskip(NEXT) | instid1(VALU_DEP_2)
	v_fma_f64 v[7:8], v[7:8], v[3:4], v[11:12]
	v_fma_f64 v[4:5], v[3:4], v[9:10], -v[5:6]
	v_mad_co_u64_u32 v[9:10], null, s0, v245, 0
	s_delay_alu instid0(VALU_DEP_1) | instskip(NEXT) | instid1(VALU_DEP_4)
	v_mov_b32_e32 v6, v10
	v_mul_f64_e32 v[2:3], s[6:7], v[7:8]
	s_delay_alu instid0(VALU_DEP_4) | instskip(NEXT) | instid1(VALU_DEP_3)
	v_mul_f64_e32 v[4:5], s[6:7], v[4:5]
	v_mad_co_u64_u32 v[6:7], null, s1, v245, v[6:7]
	s_delay_alu instid0(VALU_DEP_1) | instskip(NEXT) | instid1(VALU_DEP_1)
	v_mov_b32_e32 v10, v6
	v_lshlrev_b64_e32 v[6:7], 4, v[9:10]
	s_delay_alu instid0(VALU_DEP_1) | instskip(SKIP_1) | instid1(VALU_DEP_2)
	v_add_co_u32 v0, vcc_lo, v0, v6
	s_wait_alu 0xfffd
	v_add_co_ci_u32_e32 v1, vcc_lo, v1, v7, vcc_lo
	global_store_b128 v[0:1], v[2:5], off
.LBB0_15:
	s_nop 0
	s_sendmsg sendmsg(MSG_DEALLOC_VGPRS)
	s_endpgm
	.section	.rodata,"a",@progbits
	.p2align	6, 0x0
	.amdhsa_kernel bluestein_single_back_len51_dim1_dp_op_CI_CI
		.amdhsa_group_segment_fixed_size 12240
		.amdhsa_private_segment_fixed_size 128
		.amdhsa_kernarg_size 104
		.amdhsa_user_sgpr_count 2
		.amdhsa_user_sgpr_dispatch_ptr 0
		.amdhsa_user_sgpr_queue_ptr 0
		.amdhsa_user_sgpr_kernarg_segment_ptr 1
		.amdhsa_user_sgpr_dispatch_id 0
		.amdhsa_user_sgpr_private_segment_size 0
		.amdhsa_wavefront_size32 1
		.amdhsa_uses_dynamic_stack 0
		.amdhsa_enable_private_segment 1
		.amdhsa_system_sgpr_workgroup_id_x 1
		.amdhsa_system_sgpr_workgroup_id_y 0
		.amdhsa_system_sgpr_workgroup_id_z 0
		.amdhsa_system_sgpr_workgroup_info 0
		.amdhsa_system_vgpr_workitem_id 0
		.amdhsa_next_free_vgpr 256
		.amdhsa_next_free_sgpr 58
		.amdhsa_reserve_vcc 1
		.amdhsa_float_round_mode_32 0
		.amdhsa_float_round_mode_16_64 0
		.amdhsa_float_denorm_mode_32 3
		.amdhsa_float_denorm_mode_16_64 3
		.amdhsa_fp16_overflow 0
		.amdhsa_workgroup_processor_mode 1
		.amdhsa_memory_ordered 1
		.amdhsa_forward_progress 0
		.amdhsa_round_robin_scheduling 0
		.amdhsa_exception_fp_ieee_invalid_op 0
		.amdhsa_exception_fp_denorm_src 0
		.amdhsa_exception_fp_ieee_div_zero 0
		.amdhsa_exception_fp_ieee_overflow 0
		.amdhsa_exception_fp_ieee_underflow 0
		.amdhsa_exception_fp_ieee_inexact 0
		.amdhsa_exception_int_div_zero 0
	.end_amdhsa_kernel
	.text
.Lfunc_end0:
	.size	bluestein_single_back_len51_dim1_dp_op_CI_CI, .Lfunc_end0-bluestein_single_back_len51_dim1_dp_op_CI_CI
                                        ; -- End function
	.section	.AMDGPU.csdata,"",@progbits
; Kernel info:
; codeLenInByte = 16860
; NumSgprs: 60
; NumVgprs: 256
; ScratchSize: 128
; MemoryBound: 0
; FloatMode: 240
; IeeeMode: 1
; LDSByteSize: 12240 bytes/workgroup (compile time only)
; SGPRBlocks: 7
; VGPRBlocks: 31
; NumSGPRsForWavesPerEU: 60
; NumVGPRsForWavesPerEU: 256
; Occupancy: 5
; WaveLimiterHint : 1
; COMPUTE_PGM_RSRC2:SCRATCH_EN: 1
; COMPUTE_PGM_RSRC2:USER_SGPR: 2
; COMPUTE_PGM_RSRC2:TRAP_HANDLER: 0
; COMPUTE_PGM_RSRC2:TGID_X_EN: 1
; COMPUTE_PGM_RSRC2:TGID_Y_EN: 0
; COMPUTE_PGM_RSRC2:TGID_Z_EN: 0
; COMPUTE_PGM_RSRC2:TIDIG_COMP_CNT: 0
	.text
	.p2alignl 7, 3214868480
	.fill 96, 4, 3214868480
	.type	__hip_cuid_d4ea1c86e245efe8,@object ; @__hip_cuid_d4ea1c86e245efe8
	.section	.bss,"aw",@nobits
	.globl	__hip_cuid_d4ea1c86e245efe8
__hip_cuid_d4ea1c86e245efe8:
	.byte	0                               ; 0x0
	.size	__hip_cuid_d4ea1c86e245efe8, 1

	.ident	"AMD clang version 19.0.0git (https://github.com/RadeonOpenCompute/llvm-project roc-6.4.0 25133 c7fe45cf4b819c5991fe208aaa96edf142730f1d)"
	.section	".note.GNU-stack","",@progbits
	.addrsig
	.addrsig_sym __hip_cuid_d4ea1c86e245efe8
	.amdgpu_metadata
---
amdhsa.kernels:
  - .args:
      - .actual_access:  read_only
        .address_space:  global
        .offset:         0
        .size:           8
        .value_kind:     global_buffer
      - .actual_access:  read_only
        .address_space:  global
        .offset:         8
        .size:           8
        .value_kind:     global_buffer
      - .actual_access:  read_only
        .address_space:  global
        .offset:         16
        .size:           8
        .value_kind:     global_buffer
      - .actual_access:  read_only
        .address_space:  global
        .offset:         24
        .size:           8
        .value_kind:     global_buffer
      - .actual_access:  read_only
        .address_space:  global
        .offset:         32
        .size:           8
        .value_kind:     global_buffer
      - .offset:         40
        .size:           8
        .value_kind:     by_value
      - .address_space:  global
        .offset:         48
        .size:           8
        .value_kind:     global_buffer
      - .address_space:  global
        .offset:         56
        .size:           8
        .value_kind:     global_buffer
      - .address_space:  global
        .offset:         64
        .size:           8
        .value_kind:     global_buffer
      - .address_space:  global
        .offset:         72
        .size:           8
        .value_kind:     global_buffer
      - .offset:         80
        .size:           4
        .value_kind:     by_value
      - .address_space:  global
        .offset:         88
        .size:           8
        .value_kind:     global_buffer
      - .address_space:  global
        .offset:         96
        .size:           8
        .value_kind:     global_buffer
    .group_segment_fixed_size: 12240
    .kernarg_segment_align: 8
    .kernarg_segment_size: 104
    .language:       OpenCL C
    .language_version:
      - 2
      - 0
    .max_flat_workgroup_size: 255
    .name:           bluestein_single_back_len51_dim1_dp_op_CI_CI
    .private_segment_fixed_size: 128
    .sgpr_count:     60
    .sgpr_spill_count: 0
    .symbol:         bluestein_single_back_len51_dim1_dp_op_CI_CI.kd
    .uniform_work_group_size: 1
    .uses_dynamic_stack: false
    .vgpr_count:     256
    .vgpr_spill_count: 53
    .wavefront_size: 32
    .workgroup_processor_mode: 1
amdhsa.target:   amdgcn-amd-amdhsa--gfx1201
amdhsa.version:
  - 1
  - 2
...

	.end_amdgpu_metadata
